;; amdgpu-corpus repo=ROCm/aiter kind=harvested arch=n/a opt=n/a

/root/src/amdgpu-assembly/repos/ROCm__aiter/hsa/gfx950/fmha_v3_bwd/bwd_hd192_128_fp16_causal_a16_pssk.co:	file format elf64-amdgpu

Disassembly of section .text:

0000000000004000 <_ZN5aiter39fmha_bwd_hd192_128_fp16_causal_a16_psskE>:
	s_and_b32 s1, s1, 0xffff                                   // 000000004000: 8601FF01 0000FFFF
	s_load_dwordx2 s[32:33], s[0:1], 0x0                       // 000000004008: C0060800 00000000
	s_load_dwordx2 s[36:37], s[0:1], 0x10                      // 000000004010: C0060900 00000010
	s_load_dwordx2 s[40:41], s[0:1], 0x20                      // 000000004018: C0060A00 00000020
	s_load_dwordx2 s[8:9], s[0:1], 0x30                        // 000000004020: C0060200 00000030
	s_load_dwordx2 s[12:13], s[0:1], 0x40                      // 000000004028: C0060300 00000040
	s_load_dwordx2 s[16:17], s[0:1], 0x50                      // 000000004030: C0060400 00000050
	s_load_dwordx2 s[20:21], s[0:1], 0x60                      // 000000004038: C0060500 00000060
	s_load_dwordx2 s[24:25], s[0:1], 0x70                      // 000000004040: C0060600 00000070
	s_load_dwordx2 s[28:29], s[0:1], 0x80                      // 000000004048: C0060700 00000080
	s_load_dword s47, s[0:1], 0x90                             // 000000004050: C0020BC0 00000090
	s_load_dword s48, s[0:1], 0xa0                             // 000000004058: C0020C00 000000A0
	s_load_dword s49, s[0:1], 0xb0                             // 000000004060: C0020C40 000000B0
	s_load_dword s78, s[0:1], 0xd0                             // 000000004068: C0021380 000000D0
	s_load_dword s79, s[0:1], 0xe0                             // 000000004070: C00213C0 000000E0
	s_load_dword s5, s[0:1], 0xf0                              // 000000004078: C0020140 000000F0
	s_load_dword s44, s[0:1], 0x100                            // 000000004080: C0020B00 00000100
	s_load_dword s80, s[0:1], 0x110                            // 000000004088: C0021400 00000110
	s_load_dword s81, s[0:1], 0x120                            // 000000004090: C0021440 00000120
	s_load_dword s6, s[0:1], 0x130                             // 000000004098: C0020180 00000130
	s_load_dword s52, s[0:1], 0x140                            // 0000000040A0: C0020D00 00000140
	s_load_dword s50, s[0:1], 0x150                            // 0000000040A8: C0020C80 00000150
	s_load_dword s63, s[0:1], 0x160                            // 0000000040B0: C0020FC0 00000160
	s_load_dword s64, s[0:1], 0x180                            // 0000000040B8: C0021000 00000180
	s_load_dword s82, s[0:1], 0x190                            // 0000000040C0: C0021480 00000190
	s_load_dword s83, s[0:1], 0x1a0                            // 0000000040C8: C00214C0 000001A0
	s_load_dword s7, s[0:1], 0x1b0                             // 0000000040D0: C00201C0 000001B0
	s_load_dword s84, s[0:1], 0x1c0                            // 0000000040D8: C0021500 000001C0
	s_load_dword s85, s[0:1], 0x1d0                            // 0000000040E0: C0021540 000001D0
	s_load_dword s51, s[0:1], 0x1e0                            // 0000000040E8: C0020CC0 000001E0
	s_load_dword s86, s[0:1], 0x1f0                            // 0000000040F0: C0021580 000001F0
	s_load_dword s87, s[0:1], 0x200                            // 0000000040F8: C00215C0 00000200
	s_load_dword s88, s[0:1], 0x210                            // 000000004100: C0021600 00000210
	s_load_dword s89, s[0:1], 0x220                            // 000000004108: C0021640 00000220
	s_load_dword s53, s[0:1], 0x230                            // 000000004110: C0020D40 00000230
	v_lshrrev_b32_e32 v1, 10, v0                               // 000000004118: 2002008A
	v_lshrrev_b32_e32 v2, 10, v1                               // 00000000411C: 2004028A
	v_and_b32_e32 v2, 0x3ff, v2                                // 000000004120: 260404FF 000003FF
	v_and_b32_e32 v1, 0x3ff, v1                                // 000000004128: 260202FF 000003FF
	v_and_b32_e32 v0, 0x3ff, v0                                // 000000004130: 260000FF 000003FF
	v_lshrrev_b32_e32 v3, 6, v0                                // 000000004138: 20060086
	v_and_b32_e32 v0, 63, v0                                   // 00000000413C: 260000BF
	s_mov_b32 s2, s2                                           // 000000004140: BE820002
	s_mov_b32 s3, s3                                           // 000000004144: BE830003
	s_mov_b32 s4, s4                                           // 000000004148: BE840004
	v_readfirstlane_b32 s46, v3                                // 00000000414C: 7E5C0503
	s_waitcnt lgkmcnt(0)                                       // 000000004150: BF8CC07F
	s_mov_b32 s11, 0x20000                                     // 000000004154: BE8B00FF 00020000
	s_mov_b32 s15, 0x20000                                     // 00000000415C: BE8F00FF 00020000
	s_mov_b32 s19, 0x20000                                     // 000000004164: BE9300FF 00020000
	s_mov_b32 s23, 0x20000                                     // 00000000416C: BE9700FF 00020000
	s_mov_b32 s27, 0x20000                                     // 000000004174: BE9B00FF 00020000
	s_mov_b32 s31, 0x20000                                     // 00000000417C: BE9F00FF 00020000
	s_mov_b32 s35, 0x20000                                     // 000000004184: BEA300FF 00020000
	s_mov_b32 s39, 0x20000                                     // 00000000418C: BEA700FF 00020000
	s_mov_b32 s43, 0x20000                                     // 000000004194: BEAB00FF 00020000
	s_and_b32 s9, s9, 0xffff                                   // 00000000419C: 8609FF09 0000FFFF
	s_and_b32 s13, s13, 0xffff                                 // 0000000041A4: 860DFF0D 0000FFFF
	s_and_b32 s17, s17, 0xffff                                 // 0000000041AC: 8611FF11 0000FFFF
	s_and_b32 s21, s21, 0xffff                                 // 0000000041B4: 8615FF15 0000FFFF
	s_and_b32 s25, s25, 0xffff                                 // 0000000041BC: 8619FF19 0000FFFF
	s_and_b32 s29, s29, 0xffff                                 // 0000000041C4: 861DFF1D 0000FFFF
	s_and_b32 s33, s33, 0xffff                                 // 0000000041CC: 8621FF21 0000FFFF
	s_and_b32 s37, s37, 0xffff                                 // 0000000041D4: 8625FF25 0000FFFF
	s_and_b32 s41, s41, 0xffff                                 // 0000000041DC: 8629FF29 0000FFFF
	s_or_b32 s9, s9, 0x40000                                   // 0000000041E4: 8709FF09 00040000
	s_or_b32 s13, s13, 0x40000                                 // 0000000041EC: 870DFF0D 00040000
	s_or_b32 s17, s17, 0x40000                                 // 0000000041F4: 8711FF11 00040000
	s_or_b32 s21, s21, 0x40000                                 // 0000000041FC: 8715FF15 00040000
	s_or_b32 s25, s25, 0x40000                                 // 000000004204: 8719FF19 00040000
	s_or_b32 s29, s29, 0x40000                                 // 00000000420C: 871DFF1D 00040000
	s_or_b32 s33, s33, 0x40000                                 // 000000004214: 8721FF21 00040000
	s_or_b32 s37, s37, 0x40000                                 // 00000000421C: 8725FF25 00040000
	s_or_b32 s41, s41, 0x40000                                 // 000000004224: 8729FF29 00040000
	v_accvgpr_write_b32 a255, 0                                // 00000000422C: D3D940FF 18000080
	v_mov_b32_e32 v255, 0                                      // 000000004234: 7FFE0280
	s_mov_b32 s71, s3                                          // 000000004238: BEC70003
	v_cvt_f32_u32_e32 v32, s44                                 // 00000000423C: 7E400C2C
	s_sub_i32 s60, 0, s44                                      // 000000004240: 81BC2C80
	v_rcp_iflag_f32_e32 v32, v32                               // 000000004244: 7E404720
	s_nop 0                                                    // 000000004248: BF800000
	v_mul_f32_e32 v32, 0x4f7ffffe, v32                         // 00000000424C: 0A4040FF 4F7FFFFE
	v_cvt_u32_f32_e32 v32, v32                                 // 000000004254: 7E400F20
	v_mul_lo_u32 v33, s60, v32                                 // 000000004258: D2850021 0002403C
	v_mul_hi_u32 v33, v32, v33                                 // 000000004260: D2860021 00024320
	v_add_u32_e32 v32, v32, v33                                // 000000004268: 68404320
	v_mul_hi_u32 v32, s71, v32                                 // 00000000426C: D2860020 00024047
	v_mul_lo_u32 v33, v32, s44                                 // 000000004274: D2850021 00005920
	v_sub_u32_e32 v35, s71, v33                                // 00000000427C: 6A464247
	v_add_u32_e32 v34, 1, v32                                  // 000000004280: 68444081
	v_cmp_le_u32_e32 vcc, s44, v35                             // 000000004284: 7D96462C
	v_subrev_u32_e32 v33, s44, v35                             // 000000004288: 6C42462C
	s_nop 0                                                    // 00000000428C: BF800000
	v_cndmask_b32_e32 v32, v32, v34, vcc                       // 000000004290: 00404520
	v_cndmask_b32_e32 v35, v35, v33, vcc                       // 000000004294: 00464323
	v_add_u32_e32 v33, 1, v32                                  // 000000004298: 68424081
	v_cmp_le_u32_e32 vcc, s44, v35                             // 00000000429C: 7D96462C
	s_nop 1                                                    // 0000000042A0: BF800001
	v_cndmask_b32_e32 v35, v32, v33, vcc                       // 0000000042A4: 00464320
	s_nop 3                                                    // 0000000042A8: BF800003
	v_readfirstlane_b32 s45, v35                               // 0000000042AC: 7E5A0523
	s_nop 3                                                    // 0000000042B0: BF800003
	s_mul_i32 s61, s45, s80                                    // 0000000042B4: 923D502D
	s_mov_b32 s54, s61                                         // 0000000042B8: BEB6003D
	s_add_u32 s12, s54, s12                                    // 0000000042BC: 800C0C36
	s_addc_u32 s13, 0, s13                                     // 0000000042C0: 820D0D80
	s_mul_i32 s60, s4, s81                                     // 0000000042C4: 923C5104
	s_mul_hi_u32 s61, s4, s81                                  // 0000000042C8: 963D5104
	s_and_b32 s61, s61, 0xffff                                 // 0000000042CC: 863DFF3D 0000FFFF
	s_add_u32 s12, s12, s60                                    // 0000000042D4: 800C3C0C
	s_addc_u32 s13, s13, s61                                   // 0000000042D8: 820D3D0D
	s_mul_i32 s61, s45, s82                                    // 0000000042DC: 923D522D
	s_mov_b32 s54, s61                                         // 0000000042E0: BEB6003D
	s_add_u32 s16, s54, s16                                    // 0000000042E4: 80101036
	s_addc_u32 s17, 0, s17                                     // 0000000042E8: 82111180
	s_mul_i32 s60, s4, s83                                     // 0000000042EC: 923C5304
	s_mul_hi_u32 s61, s4, s83                                  // 0000000042F0: 963D5304
	s_and_b32 s61, s61, 0xffff                                 // 0000000042F4: 863DFF3D 0000FFFF
	s_add_u32 s16, s16, s60                                    // 0000000042FC: 80103C10
	s_addc_u32 s17, s17, s61                                   // 000000004300: 82113D11
	s_mul_i32 s61, s3, s78                                     // 000000004304: 923D4E03
	s_mul_i32 s62, s4, s79                                     // 000000004308: 923E4F04
	s_mov_b32 s55, s61                                         // 00000000430C: BEB7003D
	s_add_u32 s8, s55, s8                                      // 000000004310: 80080837
	s_addc_u32 s9, 0, s9                                       // 000000004314: 82090980
	s_mul_i32 s60, s5, s49                                     // 000000004318: 923C3105
	s_sub_i32 s61, s60, s61                                    // 00000000431C: 81BD3D3C
	s_cmp_gt_i32 s5, s78                                       // 000000004320: BF024E05
	s_cselect_b32 s60, s61, s60                                // 000000004324: 853C3C3D
	s_sub_i32 s61, s60, s62                                    // 000000004328: 81BD3E3C
	s_cmp_gt_i32 s5, s79                                       // 00000000432C: BF024F05
	s_cselect_b32 s60, s61, s60                                // 000000004330: 853C3C3D
	s_lshr_b32 s60, s60, 2                                     // 000000004334: 8F3C823C
	s_mov_b32 s10, s60                                         // 000000004338: BE8A003C
	s_mul_i32 s60, s4, s79                                     // 00000000433C: 923C4F04
	s_mul_hi_u32 s61, s4, s79                                  // 000000004340: 963D4F04
	s_and_b32 s61, s61, 0xffff                                 // 000000004344: 863DFF3D 0000FFFF
	s_add_u32 s8, s8, s60                                      // 00000000434C: 80083C08
	s_addc_u32 s9, s9, s61                                     // 000000004350: 82093D09
	s_mul_i32 s61, s3, s84                                     // 000000004354: 923D5403
	s_mul_i32 s62, s4, s85                                     // 000000004358: 923E5504
	s_mov_b32 s56, s61                                         // 00000000435C: BEB8003D
	s_add_u32 s20, s56, s20                                    // 000000004360: 80141438
	s_addc_u32 s21, 0, s21                                     // 000000004364: 82151580
	s_mul_i32 s60, s51, s49                                    // 000000004368: 923C3133
	s_sub_i32 s61, s60, s61                                    // 00000000436C: 81BD3D3C
	s_cmp_gt_i32 s51, s84                                      // 000000004370: BF025433
	s_cselect_b32 s60, s61, s60                                // 000000004374: 853C3C3D
	s_sub_i32 s61, s60, s62                                    // 000000004378: 81BD3E3C
	s_cmp_gt_i32 s51, s85                                      // 00000000437C: BF025533
	s_cselect_b32 s60, s61, s60                                // 000000004380: 853C3C3D
	s_lshr_b32 s60, s60, 2                                     // 000000004384: 8F3C823C
	s_mov_b32 s22, s60                                         // 000000004388: BE96003C
	s_mul_i32 s60, s4, s85                                     // 00000000438C: 923C5504
	s_mul_hi_u32 s61, s4, s85                                  // 000000004390: 963D5504
	s_and_b32 s61, s61, 0xffff                                 // 000000004394: 863DFF3D 0000FFFF
	s_add_u32 s20, s20, s60                                    // 00000000439C: 80143C14
	s_addc_u32 s21, s21, s61                                   // 0000000043A0: 82153D15
	s_mul_i32 s62, s64, s49                                    // 0000000043A4: 923E3140
	s_lshl_b32 s62, s62, 2                                     // 0000000043A8: 8E3E823E
	s_mul_i32 s61, s3, s49                                     // 0000000043AC: 923D3103
	s_mul_i32 s61, 4, s61                                      // 0000000043B0: 923D3D84
	s_mov_b32 s65, s61                                         // 0000000043B4: BEC1003D
	s_mov_b32 s26, s49                                         // 0000000043B8: BE9A0031
	s_mov_b32 s30, s49                                         // 0000000043BC: BE9E0031
	s_add_u32 s24, s65, s24                                    // 0000000043C0: 80181841
	s_addc_u32 s25, 0, s25                                     // 0000000043C4: 82191980
	s_add_u32 s28, s65, s28                                    // 0000000043C8: 801C1C41
	s_addc_u32 s29, 0, s29                                     // 0000000043CC: 821D1D80
	s_mul_i32 s60, s4, s62                                     // 0000000043D0: 923C3E04
	s_mul_hi_u32 s61, s4, s62                                  // 0000000043D4: 963D3E04
	s_and_b32 s61, s61, 0xffff                                 // 0000000043D8: 863DFF3D 0000FFFF
	s_add_u32 s24, s24, s60                                    // 0000000043E0: 80183C18
	s_addc_u32 s25, s25, s61                                   // 0000000043E4: 82193D19
	s_add_u32 s28, s28, s60                                    // 0000000043E8: 801C3C1C
	s_addc_u32 s29, s29, s61                                   // 0000000043EC: 821D3D1D
	s_mul_i32 s61, s3, s86                                     // 0000000043F0: 923D5603
	s_add_u32 s36, s61, s36                                    // 0000000043F4: 8024243D
	s_addc_u32 s37, 0, s37                                     // 0000000043F8: 82252580
	s_mul_i32 s60, s50, s52                                    // 0000000043FC: 923C3432
	s_mov_b32 s38, s60                                         // 000000004400: BEA6003C
	s_mul_i32 s60, s4, s87                                     // 000000004404: 923C5704
	s_mul_hi_u32 s61, s4, s87                                  // 000000004408: 963D5704
	s_and_b32 s61, s61, 0xffff                                 // 00000000440C: 863DFF3D 0000FFFF
	s_add_u32 s36, s36, s60                                    // 000000004414: 80243C24
	s_addc_u32 s37, s37, s61                                   // 000000004418: 82253D25
	s_mul_i32 s61, s3, s88                                     // 00000000441C: 923D5803
	s_add_u32 s40, s61, s40                                    // 000000004420: 8028283D
	s_addc_u32 s41, 0, s41                                     // 000000004424: 82292980
	s_mul_i32 s60, s50, s53                                    // 000000004428: 923C3532
	s_mov_b32 s42, s60                                         // 00000000442C: BEAA003C
	s_mul_i32 s60, s4, s89                                     // 000000004430: 923C5904
	s_mul_hi_u32 s61, s4, s89                                  // 000000004434: 963D5904
	s_and_b32 s61, s61, 0xffff                                 // 000000004438: 863DFF3D 0000FFFF
	s_add_u32 s40, s40, s60                                    // 000000004440: 80283C28
	s_addc_u32 s41, s41, s61                                   // 000000004444: 82293D29
	s_add_u32 s60, s49, 15                                     // 000000004448: 803C8F31
	s_lshr_b32 s60, s60, 4                                     // 00000000444C: 8F3C843C
	s_lshl_b32 s60, s60, 4                                     // 000000004450: 8E3C843C
	s_mul_i32 s61, s60, 0x180                                  // 000000004454: 923DFF3C 00000180
	s_mul_i32 s62, s61, s64                                    // 00000000445C: 923E403D
	s_mul_i32 s61, s3, s61                                     // 000000004460: 923D3D03
	s_add_u32 s32, s61, s32                                    // 000000004464: 8020203D
	s_addc_u32 s33, 0, s33                                     // 000000004468: 82212180
	s_mul_i32 s60, 0x180, s60                                  // 00000000446C: 923C3CFF 00000180
	s_mov_b32 s34, s60                                         // 000000004474: BEA2003C
	s_mul_i32 s60, s4, s62                                     // 000000004478: 923C3E04
	s_mul_hi_u32 s61, s4, s62                                  // 00000000447C: 963D3E04
	s_and_b32 s61, s61, 0xffff                                 // 000000004480: 863DFF3D 0000FFFF
	s_add_u32 s32, s32, s60                                    // 000000004488: 80203C20
	s_addc_u32 s33, s33, s61                                   // 00000000448C: 82213D21
	s_mov_b32 s93, s8                                          // 000000004490: BEDD0008
	s_mov_b32 s95, s12                                         // 000000004494: BEDF000C
	s_mov_b32 s97, s16                                         // 000000004498: BEE10010
	s_mov_b32 s99, s20                                         // 00000000449C: BEE30014
	s_mov_b32 s94, s9                                          // 0000000044A0: BEDE0009
	s_mov_b32 s96, s13                                         // 0000000044A4: BEE0000D
	s_mov_b32 s98, s17                                         // 0000000044A8: BEE20011
	s_mov_b32 s100, s21                                        // 0000000044AC: BEE40015
	s_add_u32 s71, 0xbf, s50                                   // 0000000044B0: 804732FF 000000BF
	s_mov_b32 s74, 0xc0                                        // 0000000044B8: BECA00FF 000000C0
	v_cvt_f32_u32_e32 v32, s74                                 // 0000000044C0: 7E400C4A
	s_sub_i32 s60, 0, s74                                      // 0000000044C4: 81BC4A80
	v_rcp_iflag_f32_e32 v32, v32                               // 0000000044C8: 7E404720
	s_nop 0                                                    // 0000000044CC: BF800000
	v_mul_f32_e32 v32, 0x4f7ffffe, v32                         // 0000000044D0: 0A4040FF 4F7FFFFE
	v_cvt_u32_f32_e32 v32, v32                                 // 0000000044D8: 7E400F20
	v_mul_lo_u32 v33, s60, v32                                 // 0000000044DC: D2850021 0002403C
	v_mul_hi_u32 v33, v32, v33                                 // 0000000044E4: D2860021 00024320
	v_add_u32_e32 v32, v32, v33                                // 0000000044EC: 68404320
	v_mul_hi_u32 v32, s71, v32                                 // 0000000044F0: D2860020 00024047
	v_mul_lo_u32 v33, v32, s74                                 // 0000000044F8: D2850021 00009520
	v_sub_u32_e32 v35, s71, v33                                // 000000004500: 6A464247
	v_add_u32_e32 v34, 1, v32                                  // 000000004504: 68444081
	v_cmp_le_u32_e32 vcc, s74, v35                             // 000000004508: 7D96464A
	v_subrev_u32_e32 v33, s74, v35                             // 00000000450C: 6C42464A
	s_nop 0                                                    // 000000004510: BF800000
	v_cndmask_b32_e32 v32, v32, v34, vcc                       // 000000004514: 00404520
	v_cndmask_b32_e32 v35, v35, v33, vcc                       // 000000004518: 00464323
	v_add_u32_e32 v33, 1, v32                                  // 00000000451C: 68424081
	v_cmp_le_u32_e32 vcc, s74, v35                             // 000000004520: 7D96464A
	s_nop 1                                                    // 000000004524: BF800001
	v_cndmask_b32_e32 v35, v32, v33, vcc                       // 000000004528: 00464320
	s_nop 3                                                    // 00000000452C: BF800003
	v_readfirstlane_b32 s77, v35                               // 000000004530: 7E9A0523
	s_nop 3                                                    // 000000004534: BF800003
	v_mov_b32_e32 v32, s47                                     // 000000004538: 7E40022F
	v_mul_f32_e32 v32, s48, v32                                // 00000000453C: 0A404030
	s_mov_b32 s58, s49                                         // 000000004540: BEBA0031
	s_mov_b32 s59, 0                                           // 000000004544: BEBB0080
	v_readfirstlane_b32 s57, v32                               // 000000004548: 7E720520
	s_mov_b32 s67, 0x1800                                      // 00000000454C: BEC300FF 00001800
	s_cmp_lt_u32 s46, 2                                        // 000000004554: BF0A822E
	s_cselect_b32 s24, s24, s28                                // 000000004558: 85181C18
	s_cselect_b32 s25, s25, s29                                // 00000000455C: 85191D19
	s_cselect_b32 s26, s26, s30                                // 000000004560: 851A1E1A
	s_cselect_b32 s27, s27, s31                                // 000000004564: 851B1F1B
	s_mov_b32 s75, 0                                           // 000000004568: BECB0080
	s_mov_b32 s76, 1                                           // 00000000456C: BECC0081
	s_lshl_b32 s60, s2, 1                                      // 000000004570: 8E3C8102
	s_add_u32 s60, 1, s60                                      // 000000004574: 803C3C81
	s_cmp_ge_i32 s60, s77                                      // 000000004578: BF034D3C
	s_cselect_b32 s76, s76, 2                                  // 00000000457C: 854C824C

0000000000004580 <label_0160>:
	s_mov_b32 s66, 0                                           // 000000004580: BEC20080
	v_mov_b32_e32 v127, 0xff800000                             // 000000004584: 7EFE02FF FF800000
	s_mov_b32 s74, 0                                           // 00000000458C: BECA0080
	s_mul_i32 s68, 4, s5                                       // 000000004590: 92440584
	s_mul_i32 s101, 4, s51                                     // 000000004594: 92653384
	s_mov_b32 s69, 16                                          // 000000004598: BEC50090
	s_mul_i32 s59, 0xc0, s2                                    // 00000000459C: 923B02FF 000000C0
	s_mul_i32 s54, s6, s59                                     // 0000000045A4: 92363B06
	s_sub_i32 s61, s50, s59                                    // 0000000045A8: 81BD3B32
	s_mul_i32 s62, s6, s61                                     // 0000000045AC: 923E3D06
	s_lshr_b32 s62, s62, 2                                     // 0000000045B0: 8F3E823E
	s_mov_b32 s14, s62                                         // 0000000045B4: BE8E003E
	s_add_u32 s12, s54, s95                                    // 0000000045B8: 800C5F36
	s_addc_u32 s13, 0, s96                                     // 0000000045BC: 820D6080
	s_mul_i32 s54, s7, s59                                     // 0000000045C0: 92363B07
	s_mul_i32 s62, s7, s61                                     // 0000000045C4: 923E3D07
	s_lshr_b32 s62, s62, 2                                     // 0000000045C8: 8F3E823E
	s_mov_b32 s18, s62                                         // 0000000045CC: BE92003E
	s_add_u32 s16, s54, s97                                    // 0000000045D0: 80106136
	s_addc_u32 s17, 0, s98                                     // 0000000045D4: 82116280
	s_mov_b32 s71, s6                                          // 0000000045D8: BEC70006
	v_and_b32_e32 v32, 3, v0                                   // 0000000045DC: 26400083
	v_and_b32_e32 v33, 1, v32                                  // 0000000045E0: 26424081
	v_lshrrev_b32_e32 v34, 1, v32                              // 0000000045E4: 20444081
	v_lshrrev_b32_e32 v32, 5, v0                               // 0000000045E8: 20400085
	v_xor_b32_e32 v34, v34, v32                                // 0000000045EC: 2A444122
	v_lshlrev_b32_e32 v34, 1, v34                              // 0000000045F0: 24444481
	v_add_u32_e32 v33, v34, v33                                // 0000000045F4: 68424322
	v_lshlrev_b32_e32 v33, 4, v33                              // 0000000045F8: 24424284
	v_lshrrev_b32_e32 v32, 2, v0                               // 0000000045FC: 20400082
	v_mul_i32_i24_e32 v32, s71, v32                            // 000000004600: 0C404047
	v_add_u32_e32 v1, v32, v33                                 // 000000004604: 68024320
	s_mul_i32 s60, s46, 64                                     // 000000004608: 923CC02E
	v_add_u32_e32 v1, s60, v1                                  // 00000000460C: 6802023C
	v_and_b32_e32 v32, 7, v0                                   // 000000004610: 26400087
	v_lshrrev_b32_e32 v33, 3, v0                               // 000000004614: 20420083
	v_and_b32_e32 v33, 1, v33                                  // 000000004618: 26424281
	s_lshr_b32 s60, s46, 1                                     // 00000000461C: 8F3C812E
	v_xor_b32_e64 v33, v33, s60                                // 000000004620: D1150021 00007921
	v_lshlrev_b32_e32 v33, 3, v33                              // 000000004628: 24424283
	v_add_u32_e32 v32, v32, v33                                // 00000000462C: 68404320
	v_lshlrev_b32_e32 v32, 2, v32                              // 000000004630: 24404082
	s_mul_i32 s60, s46, 4                                      // 000000004634: 923C842E
	v_lshrrev_b32_e32 v33, 4, v0                               // 000000004638: 20420084
	v_add_u32_e64 v33, v33, s60                                // 00000000463C: D1340021 00007921
	v_mul_i32_i24_e32 v33, s71, v33                            // 000000004644: 0C424247
	v_add_u32_e32 v2, v32, v33                                 // 000000004648: 68044320
	s_mov_b32 s60, 0x100                                       // 00000000464C: BEBC00FF 00000100
	v_add_u32_e64 v2, v2, s60                                  // 000000004654: D1340002 00007902
	v_add_u32_e64 v3, v2, 64                                   // 00000000465C: D1340003 00018102
	s_mov_b32 s71, s7                                          // 000000004664: BEC70007
	v_and_b32_e32 v32, 3, v0                                   // 000000004668: 26400083
	v_and_b32_e32 v33, 1, v32                                  // 00000000466C: 26424081
	v_lshrrev_b32_e32 v34, 1, v32                              // 000000004670: 20444081
	v_lshrrev_b32_e32 v32, 5, v0                               // 000000004674: 20400085
	v_xor_b32_e32 v34, v34, v32                                // 000000004678: 2A444122
	v_lshlrev_b32_e32 v34, 1, v34                              // 00000000467C: 24444481
	v_add_u32_e32 v33, v34, v33                                // 000000004680: 68424322
	v_lshlrev_b32_e32 v33, 4, v33                              // 000000004684: 24424284
	v_lshrrev_b32_e32 v32, 2, v0                               // 000000004688: 20400082
	v_mul_i32_i24_e32 v32, s71, v32                            // 00000000468C: 0C404047
	v_add_u32_e32 v4, v32, v33                                 // 000000004690: 68084320
	s_mul_i32 s60, s46, 64                                     // 000000004694: 923CC02E
	v_add_u32_e32 v4, s60, v4                                  // 000000004698: 6808083C
	v_lshrrev_b32_e32 v1, 2, v1                                // 00000000469C: 20020282
	v_lshrrev_b32_e32 v2, 2, v2                                // 0000000046A0: 20040482
	v_lshrrev_b32_e32 v3, 2, v3                                // 0000000046A4: 20060682
	v_lshrrev_b32_e32 v4, 2, v4                                // 0000000046A8: 20080882
	s_mov_b32 s70, s52                                         // 0000000046AC: BEC60034
	v_lshrrev_b32_e32 v32, 3, v0                               // 0000000046B0: 20400083
	v_mul_i32_i24_e32 v5, s70, v32                             // 0000000046B4: 0C0A4046
	v_lshrrev_b32_e32 v5, 2, v5                                // 0000000046B8: 200A0A82
	v_and_b32_e32 v32, 7, v0                                   // 0000000046BC: 26400087
	v_lshlrev_b32_e32 v33, 2, v32                              // 0000000046C0: 24424082
	v_add_u32_e32 v5, v33, v5                                  // 0000000046C4: 680A0B21
	s_mul_i32 s60, 16, s70                                     // 0000000046C8: 923C4690
	s_mul_i32 s60, s46, s60                                    // 0000000046CC: 923C3C2E
	v_lshlrev_b32_e32 v5, 2, v5                                // 0000000046D0: 240A0A82
	v_add_u32_e32 v5, s60, v5                                  // 0000000046D4: 680A0A3C
	s_mul_i32 s60, s52, s59                                    // 0000000046D8: 923C3B34
	v_add_u32_e32 v5, s60, v5                                  // 0000000046DC: 680A0A3C
	s_mov_b32 s70, s53                                         // 0000000046E0: BEC60035
	v_lshrrev_b32_e32 v32, 3, v0                               // 0000000046E4: 20400083
	v_mul_i32_i24_e32 v6, s70, v32                             // 0000000046E8: 0C0C4046
	v_lshrrev_b32_e32 v6, 2, v6                                // 0000000046EC: 200C0C82
	v_and_b32_e32 v32, 7, v0                                   // 0000000046F0: 26400087
	v_lshlrev_b32_e32 v33, 2, v32                              // 0000000046F4: 24424082
	v_add_u32_e32 v6, v33, v6                                  // 0000000046F8: 680C0D21
	s_mul_i32 s60, 16, s70                                     // 0000000046FC: 923C4690
	s_mul_i32 s60, s46, s60                                    // 000000004700: 923C3C2E
	v_lshlrev_b32_e32 v6, 2, v6                                // 000000004704: 240C0C82
	v_add_u32_e32 v6, s60, v6                                  // 000000004708: 680C0C3C
	s_mul_i32 s60, s53, s59                                    // 00000000470C: 923C3B35
	v_add_u32_e32 v6, s60, v6                                  // 000000004710: 680C0C3C
	s_cmp_ge_i32 s59, s49                                      // 000000004714: BF03313B
	s_cselect_b32 s59, s49, s59                                // 000000004718: 853B3B31
	s_add_u32 s73, 16, s59                                     // 00000000471C: 80493B90
	s_mul_i32 s65, s59, 4                                      // 000000004720: 9241843B
	v_and_b32_e32 v11, 15, v0                                  // 000000004724: 2616008F
	v_lshlrev_b32_e32 v11, 2, v11                              // 000000004728: 24161682
	v_add_u32_e32 v11, s65, v11                                // 00000000472C: 68161641
	v_lshrrev_b32_e32 v11, 2, v11                              // 000000004730: 20161682
	v_lshrrev_b32_e32 v32, 5, v0                               // 000000004734: 20400085
	v_mul_i32_i24_e32 v7, 0x60, v32                            // 000000004738: 0C0E40FF 00000060
	v_and_b32_e32 v32, 31, v0                                  // 000000004740: 2640009F
	v_add_u32_e32 v7, v32, v7                                  // 000000004744: 680E0F20
	v_mov_b32_e32 v8, v7                                       // 000000004748: 7E100307
	v_mov_b32_e32 v9, v7                                       // 00000000474C: 7E120307
	s_and_b32 s60, 1, s46                                      // 000000004750: 863C2E81
	s_lshr_b32 s61, s46, 1                                     // 000000004754: 8F3D812E
	s_xor_b32 s62, s61, s60                                    // 000000004758: 883E3C3D
	v_mov_b32_e32 v32, s62                                     // 00000000475C: 7E40023E
	v_lshlrev_b32_e32 v33, 1, v32                              // 000000004760: 24424081
	v_add_u32_e32 v33, s60, v33                                // 000000004764: 6842423C
	v_mul_i32_i24_e32 v33, 0x180, v33                          // 000000004768: 0C4242FF 00000180
	v_add_u32_e32 v7, v33, v7                                  // 000000004770: 680E0F21
	s_mul_i32 s62, s61, s46                                    // 000000004774: 923E2E3D
	s_sub_i32 s62, s62, s61                                    // 000000004778: 81BE3D3E
	s_mul_i32 s62, 32, s62                                     // 00000000477C: 923E3EA0
	v_add_u32_e32 v7, s62, v7                                  // 000000004780: 680E0E3E
	s_lshl_b32 s62, s61, 1                                     // 000000004784: 8E3E813D
	s_add_u32 s62, 1, s62                                      // 000000004788: 803E3E81
	s_sub_i32 s62, s62, s60                                    // 00000000478C: 81BE3C3E
	s_mul_i32 s62, 0x180, s62                                  // 000000004790: 923E3EFF 00000180
	v_add_u32_e32 v8, s62, v8                                  // 000000004798: 6810103E
	s_and_b32 s62, s60, s61                                    // 00000000479C: 863E3D3C
	s_lshl_b32 s62, s62, 1                                     // 0000000047A0: 8E3E813E
	v_add_u32_e32 v33, s62, v32                                // 0000000047A4: 6842403E
	v_mul_i32_i24_e32 v33, 32, v33                             // 0000000047A8: 0C4242A0
	v_add_u32_e32 v8, v33, v8                                  // 0000000047AC: 68101121
	v_sub_u32_e32 v33, 1, v32                                  // 0000000047B0: 6A424081
	v_lshlrev_b32_e32 v33, 1, v33                              // 0000000047B4: 24424281
	v_add_u32_e32 v33, s60, v33                                // 0000000047B8: 6842423C
	v_mul_i32_i24_e32 v33, 0x180, v33                          // 0000000047BC: 0C4242FF 00000180
	v_add_u32_e32 v9, v33, v9                                  // 0000000047C4: 68121321
	s_and_b32 s62, s60, s61                                    // 0000000047C8: 863E3D3C
	s_sub_i32 s62, s46, s62                                    // 0000000047CC: 81BE3E2E
	s_mul_i32 s62, 32, s62                                     // 0000000047D0: 923E3EA0
	v_add_u32_e32 v9, s62, v9                                  // 0000000047D4: 6812123E
	v_lshlrev_b32_e32 v7, 2, v7                                // 0000000047D8: 240E0E82
	v_lshlrev_b32_e32 v8, 2, v8                                // 0000000047DC: 24101082
	v_lshlrev_b32_e32 v9, 2, v9                                // 0000000047E0: 24121282
	s_mul_i32 s60, 0x180, s59                                  // 0000000047E4: 923C3BFF 00000180
	v_add_u32_e32 v7, s60, v7                                  // 0000000047EC: 680E0E3C
	v_add_u32_e32 v8, s60, v8                                  // 0000000047F0: 6810103C
	v_add_u32_e32 v9, s60, v9                                  // 0000000047F4: 6812123C
	s_mul_i32 s60, 3, s2                                       // 0000000047F8: 923C0283
	s_add_u32 s61, s50, 63                                     // 0000000047FC: 803DBF32
	s_lshr_b32 s61, s61, 6                                     // 000000004800: 8F3D863D
	s_sub_i32 s72, s61, s60                                    // 000000004804: 81C83C3D
	s_cmp_lt_i32 s72, 3                                        // 000000004808: BF048348
	s_cselect_b32 s72, s72, 3                                  // 00000000480C: 85488348
	s_mul_i32 s60, 0xc0, s2                                    // 000000004810: 923C02FF 000000C0
	s_sub_i32 s64, s50, s60                                    // 000000004818: 81C03C32
	v_lshrrev_b32_e32 v32, 4, v0                               // 00000000481C: 20400084
	v_and_b32_e32 v33, 1, v32                                  // 000000004820: 26424081
	v_lshrrev_b32_e32 v34, 1, v32                              // 000000004824: 20444081
	v_and_b32_e32 v32, 15, v0                                  // 000000004828: 2640008F
	v_lshlrev_b32_e32 v12, 4, v32                              // 00000000482C: 24184084
	v_lshrrev_b32_e32 v32, 3, v32                              // 000000004830: 20404083
	v_xor_b32_e32 v32, v32, v34                                // 000000004834: 2A404520
	v_lshlrev_b32_e32 v32, 1, v32                              // 000000004838: 24404081
	v_add_u32_e32 v32, v33, v32                                // 00000000483C: 68404121
	v_lshlrev_b32_e32 v32, 2, v32                              // 000000004840: 24404082
	v_add_u32_e32 v12, v32, v12                                // 000000004844: 68181920
	v_lshlrev_b32_e32 v12, 2, v12                              // 000000004848: 24181882
	s_mul_i32 s60, s46, 0x1800                                 // 00000000484C: 923CFF2E 00001800
	v_add_u32_e32 v17, s60, v12                                // 000000004854: 6822183C
	s_mul_i32 s60, s46, 0x1000                                 // 000000004858: 923CFF2E 00001000
	v_add_u32_e32 v18, s60, v12                                // 000000004860: 6824183C
	v_and_b32_e32 v32, 15, v0                                  // 000000004864: 2640008F
	v_and_b32_e32 v33, 3, v32                                  // 000000004868: 26424083
	v_lshrrev_b32_e32 v34, 2, v32                              // 00000000486C: 20444082
	v_lshlrev_b32_e32 v33, 1, v33                              // 000000004870: 24424281
	v_lshlrev_b32_e32 v34, 4, v34                              // 000000004874: 24444484
	v_add_u32_e32 v13, v33, v34                                // 000000004878: 681A4521
	v_lshrrev_b32_e32 v32, 5, v0                               // 00000000487C: 20400085
	v_mul_i32_i24_e32 v33, 0x600, v32                          // 000000004880: 0C4240FF 00000600
	v_mul_i32_i24_e32 v34, 0x80, v32                           // 000000004888: 0C4440FF 00000080
	v_add_u32_e32 v19, v33, v13                                // 000000004890: 68261B21
	v_add_u32_e32 v13, v34, v13                                // 000000004894: 681A1B22
	v_lshrrev_b32_e32 v33, 4, v0                               // 000000004898: 20420084
	v_and_b32_e32 v33, 1, v33                                  // 00000000489C: 26424281
	v_mul_i32_i24_e32 v34, 0x80, v33                           // 0000000048A0: 0C4442FF 00000080
	v_add_u32_e32 v19, v34, v19                                // 0000000048A8: 68262722
	v_xor_b32_e32 v32, v32, v33                                // 0000000048AC: 2A404320
	v_mul_i32_i24_e32 v32, 8, v32                              // 0000000048B0: 0C404088
	v_add_u32_e32 v13, v32, v13                                // 0000000048B4: 681A1B20
	v_mul_i32_i24_e32 v32, 8, v33                              // 0000000048B8: 0C404288
	v_xor_b32_e32 v33, 1, v33                                  // 0000000048BC: 2A424281
	v_mul_i32_i24_e32 v33, 8, v33                              // 0000000048C0: 0C424288
	v_add_u32_e32 v20, v33, v19                                // 0000000048C4: 68282721
	v_add_u32_e32 v19, v32, v19                                // 0000000048C8: 68262720
	v_mov_b32_e32 v32, v19                                     // 0000000048CC: 7E400313
	v_mov_b32_e32 v33, v20                                     // 0000000048D0: 7E420314
	s_and_b32 s60, 1, s46                                      // 0000000048D4: 863C2E81
	s_sub_i32 s61, 1, s60                                      // 0000000048D8: 81BD3C81
	v_mul_i32_i24_e32 v34, s61, v32                            // 0000000048DC: 0C44403D
	v_mul_i32_i24_e32 v35, s60, v33                            // 0000000048E0: 0C46423C
	v_add_u32_e32 v19, v34, v35                                // 0000000048E4: 68264722
	v_mul_i32_i24_e32 v34, s60, v32                            // 0000000048E8: 0C44403C
	v_mul_i32_i24_e32 v35, s61, v33                            // 0000000048EC: 0C46423D
	v_add_u32_e32 v20, v34, v35                                // 0000000048F0: 68284722
	s_mul_i32 s61, 0x100, s46                                  // 0000000048F4: 923D2EFF 00000100
	v_add_u32_e32 v19, s61, v19                                // 0000000048FC: 6826263D
	s_lshr_b32 s61, s46, 1                                     // 000000004900: 8F3D812E
	s_mul_i32 s62, 0x100, s61                                  // 000000004904: 923E3DFF 00000100
	v_add_u32_e32 v19, s62, v19                                // 00000000490C: 6826263E
	v_mov_b32_e32 v21, v19                                     // 000000004910: 7E2A0313
	v_add_u32_e32 v21, 0x100, v21                              // 000000004914: 682A2AFF 00000100
	s_mul_i32 s60, 0x200, s60                                  // 00000000491C: 923C3CFF 00000200
	s_mul_i32 s61, 0x300, s61                                  // 000000004924: 923D3DFF 00000300
	v_add_u32_e32 v20, s60, v20                                // 00000000492C: 6828283C
	v_add_u32_e32 v20, s61, v20                                // 000000004930: 6828283D
	v_lshlrev_b32_e32 v13, 2, v13                              // 000000004934: 241A1A82
	v_lshlrev_b32_e32 v19, 2, v19                              // 000000004938: 24262682
	v_lshlrev_b32_e32 v20, 2, v20                              // 00000000493C: 24282882
	v_lshlrev_b32_e32 v21, 2, v21                              // 000000004940: 242A2A82
	v_lshrrev_b32_e32 v32, 4, v0                               // 000000004944: 20400084
	v_mul_i32_i24_e32 v16, 4, v32                              // 000000004948: 0C204084
	v_and_b32_e32 v33, 3, v0                                   // 00000000494C: 26420083
	v_add_u32_e32 v16, v33, v16                                // 000000004950: 68202121
	v_lshlrev_b32_e32 v16, 2, v16                              // 000000004954: 24202082
	v_and_b32_e32 v32, 15, v0                                  // 000000004958: 2640008F
	v_and_b32_e32 v33, 3, v32                                  // 00000000495C: 26424083
	v_and_b32_e32 v34, 1, v33                                  // 000000004960: 26444281
	v_lshlrev_b32_e32 v14, 5, v34                              // 000000004964: 241C4485
	v_lshrrev_b32_e32 v33, 1, v33                              // 000000004968: 20424281
	v_mul_i32_i24_e32 v33, 0x48, v33                           // 00000000496C: 0C4242FF 00000048
	v_add_u32_e32 v14, v33, v14                                // 000000004974: 681C1D21
	v_lshrrev_b32_e32 v33, 2, v32                              // 000000004978: 20424082
	v_lshlrev_b32_e32 v33, 1, v33                              // 00000000497C: 24424281
	v_add_u32_e32 v14, v33, v14                                // 000000004980: 681C1D21
	v_lshrrev_b32_e32 v32, 5, v0                               // 000000004984: 20400085
	v_mul_i32_i24_e32 v32, 0x90, v32                           // 000000004988: 0C4040FF 00000090
	v_and_b32_e32 v33, 16, v0                                  // 000000004990: 26420090
	v_add_u32_e32 v14, v32, v14                                // 000000004994: 681C1D20
	v_add_u32_e32 v14, v33, v14                                // 000000004998: 681C1D21
	v_lshlrev_b32_e32 v14, 2, v14                              // 00000000499C: 241C1C82
	v_lshrrev_b32_e32 v32, 5, v0                               // 0000000049A0: 20400085
	v_mul_i32_i24_e32 v15, 0x48, v32                           // 0000000049A4: 0C1E40FF 00000048
	v_and_b32_e32 v32, 31, v0                                  // 0000000049AC: 2640009F
	v_lshlrev_b32_e32 v32, 1, v32                              // 0000000049B0: 24404081
	v_add_u32_e32 v15, v32, v15                                // 0000000049B4: 681E1F20
	s_mul_i32 s60, s46, 0x90                                   // 0000000049B8: 923CFF2E 00000090
	v_add_u32_e32 v15, s60, v15                                // 0000000049C0: 681E1E3C
	v_lshlrev_b32_e32 v15, 2, v15                              // 0000000049C4: 241E1E82
	s_mul_i32 s60, s46, 0x400                                  // 0000000049C8: 923CFF2E 00000400
	s_add_u32 m0, 0, s60                                       // 0000000049D0: 807C3C80
	buffer_load_dwordx4 v4, s[16:19], 0 idxen lds              // 0000000049D4: E05D2000 80040004
	s_add_u32 m0, 0x1000, m0                                   // 0000000049DC: 807C7CFF 00001000
	s_mul_i32 s60, 4, s7                                       // 0000000049E4: 923C0784
	v_add_u32_e32 v4, s60, v4                                  // 0000000049E8: 6808083C
	buffer_load_dwordx4 v4, s[16:19], 0 idxen lds              // 0000000049EC: E05D2000 80040004
	s_add_u32 m0, 0x1000, m0                                   // 0000000049F4: 807C7CFF 00001000
	s_mul_i32 s60, 4, s7                                       // 0000000049FC: 923C0784
	v_add_u32_e32 v4, s60, v4                                  // 000000004A00: 6808083C
	buffer_load_dwordx4 v4, s[16:19], 0 idxen lds              // 000000004A04: E05D2000 80040004
	s_add_u32 m0, 0x1000, m0                                   // 000000004A0C: 807C7CFF 00001000
	s_mul_i32 s60, 4, s7                                       // 000000004A14: 923C0784
	v_add_u32_e32 v4, s60, v4                                  // 000000004A18: 6808083C
	buffer_load_dwordx4 v4, s[16:19], 0 idxen lds              // 000000004A1C: E05D2000 80040004
	s_add_u32 m0, 0x1000, m0                                   // 000000004A24: 807C7CFF 00001000
	s_mul_i32 s60, 4, s7                                       // 000000004A2C: 923C0784
	v_add_u32_e32 v4, s60, v4                                  // 000000004A30: 6808083C
	buffer_load_dwordx4 v4, s[16:19], 0 idxen lds              // 000000004A34: E05D2000 80040004
	s_add_u32 m0, 0x1000, m0                                   // 000000004A3C: 807C7CFF 00001000
	s_mul_i32 s60, 4, s7                                       // 000000004A44: 923C0784
	v_add_u32_e32 v4, s60, v4                                  // 000000004A48: 6808083C
	buffer_load_dwordx4 v4, s[16:19], 0 idxen lds              // 000000004A4C: E05D2000 80040004
	s_add_u32 m0, 0x1000, m0                                   // 000000004A54: 807C7CFF 00001000
	s_mul_i32 s60, 4, s7                                       // 000000004A5C: 923C0784
	v_add_u32_e32 v4, s60, v4                                  // 000000004A60: 6808083C
	buffer_load_dwordx4 v4, s[16:19], 0 idxen lds              // 000000004A64: E05D2000 80040004
	s_add_u32 m0, 0x1000, m0                                   // 000000004A6C: 807C7CFF 00001000
	s_mul_i32 s60, 4, s7                                       // 000000004A74: 923C0784
	v_add_u32_e32 v4, s60, v4                                  // 000000004A78: 6808083C
	buffer_load_dwordx4 v4, s[16:19], 0 idxen lds              // 000000004A7C: E05D2000 80040004
	s_add_u32 m0, 0x1000, m0                                   // 000000004A84: 807C7CFF 00001000
	s_mul_i32 s60, 4, s7                                       // 000000004A8C: 923C0784
	v_add_u32_e32 v4, s60, v4                                  // 000000004A90: 6808083C
	buffer_load_dwordx4 v4, s[16:19], 0 idxen lds              // 000000004A94: E05D2000 80040004
	s_add_u32 m0, 0x1000, m0                                   // 000000004A9C: 807C7CFF 00001000
	s_mul_i32 s60, 4, s7                                       // 000000004AA4: 923C0784
	v_add_u32_e32 v4, s60, v4                                  // 000000004AA8: 6808083C
	buffer_load_dwordx4 v4, s[16:19], 0 idxen lds              // 000000004AAC: E05D2000 80040004
	s_add_u32 m0, 0x1000, m0                                   // 000000004AB4: 807C7CFF 00001000
	s_mul_i32 s60, 4, s7                                       // 000000004ABC: 923C0784
	v_add_u32_e32 v4, s60, v4                                  // 000000004AC0: 6808083C
	buffer_load_dwordx4 v4, s[16:19], 0 idxen lds              // 000000004AC4: E05D2000 80040004
	s_add_u32 m0, 0x1000, m0                                   // 000000004ACC: 807C7CFF 00001000
	s_mul_i32 s60, 4, s7                                       // 000000004AD4: 923C0784
	v_add_u32_e32 v4, s60, v4                                  // 000000004AD8: 6808083C
	buffer_load_dwordx4 v4, s[16:19], 0 idxen lds              // 000000004ADC: E05D2000 80040004
	s_add_u32 m0, 0x1000, m0                                   // 000000004AE4: 807C7CFF 00001000
	s_mul_i32 s60, 4, s7                                       // 000000004AEC: 923C0784
	v_add_u32_e32 v4, s60, v4                                  // 000000004AF0: 6808083C
	s_mul_i32 s60, s46, 0x400                                  // 000000004AF4: 923CFF2E 00000400
	s_mul_i32 s61, s46, 0x100                                  // 000000004AFC: 923DFF2E 00000100
	s_add_u32 s78, 0xc000, s60                                 // 000000004B04: 804E3CFF 0000C000
	s_add_u32 s79, 0xc000, s61                                 // 000000004B0C: 804F3DFF 0000C000
	s_add_u32 s79, 0x1000, s79                                 // 000000004B14: 804F4FFF 00001000
	s_add_u32 s80, 0x400, s79                                  // 000000004B1C: 80504FFF 00000400
	s_waitcnt vmcnt(8) lgkmcnt(0)                              // 000000004B24: BF8C0078
	s_barrier                                                  // 000000004B28: BF8A0000
	ds_read_b128 a[64:67], v18                                 // 000000004B2C: DBFE0000 40000012
	ds_read_b128 a[68:71], v18 offset:1024                     // 000000004B34: DBFE0400 44000012
	ds_read_b128 a[72:75], v18 offset:2048                     // 000000004B3C: DBFE0800 48000012
	ds_read_b128 a[76:79], v18 offset:3072                     // 000000004B44: DBFE0C00 4C000012
	s_waitcnt lgkmcnt(0)                                       // 000000004B4C: BF8CC07F
	s_barrier                                                  // 000000004B50: BF8A0000
	s_mov_b32 m0, s78                                          // 000000004B54: BEFC004E
	buffer_load_dwordx4 v1, s[12:15], 0 idxen lds              // 000000004B58: E05D2000 80030001
	s_mov_b32 m0, s79                                          // 000000004B60: BEFC004F
	buffer_load_dword v2, s[12:15], 0 idxen lds                // 000000004B64: E0512000 80030002
	s_mov_b32 m0, s80                                          // 000000004B6C: BEFC0050
	buffer_load_dword v3, s[12:15], 0 idxen lds                // 000000004B70: E0512000 80030003
	s_add_u32 s78, 0x1800, s78                                 // 000000004B78: 804E4EFF 00001800
	s_add_u32 s79, 0x1800, s79                                 // 000000004B80: 804F4FFF 00001800
	s_add_u32 s80, 0x1800, s80                                 // 000000004B88: 805050FF 00001800
	s_mul_i32 s60, 4, s6                                       // 000000004B90: 923C0684
	v_add_u32_e32 v1, s60, v1                                  // 000000004B94: 6802023C
	v_add_u32_e32 v2, s60, v2                                  // 000000004B98: 6804043C
	v_add_u32_e32 v3, s60, v3                                  // 000000004B9C: 6806063C
	s_mov_b32 m0, s78                                          // 000000004BA0: BEFC004E
	buffer_load_dwordx4 v1, s[12:15], 0 idxen lds              // 000000004BA4: E05D2000 80030001
	s_mov_b32 m0, s79                                          // 000000004BAC: BEFC004F
	buffer_load_dword v2, s[12:15], 0 idxen lds                // 000000004BB0: E0512000 80030002
	s_mov_b32 m0, s80                                          // 000000004BB8: BEFC0050
	buffer_load_dword v3, s[12:15], 0 idxen lds                // 000000004BBC: E0512000 80030003
	s_add_u32 s78, 0x1800, s78                                 // 000000004BC4: 804E4EFF 00001800
	s_add_u32 s79, 0x1800, s79                                 // 000000004BCC: 804F4FFF 00001800
	s_add_u32 s80, 0x1800, s80                                 // 000000004BD4: 805050FF 00001800
	s_mul_i32 s60, 4, s6                                       // 000000004BDC: 923C0684
	v_add_u32_e32 v1, s60, v1                                  // 000000004BE0: 6802023C
	v_add_u32_e32 v2, s60, v2                                  // 000000004BE4: 6804043C
	v_add_u32_e32 v3, s60, v3                                  // 000000004BE8: 6806063C
	s_mov_b32 m0, s78                                          // 000000004BEC: BEFC004E
	buffer_load_dwordx4 v1, s[12:15], 0 idxen lds              // 000000004BF0: E05D2000 80030001
	s_mov_b32 m0, s79                                          // 000000004BF8: BEFC004F
	buffer_load_dword v2, s[12:15], 0 idxen lds                // 000000004BFC: E0512000 80030002
	s_mov_b32 m0, s80                                          // 000000004C04: BEFC0050
	buffer_load_dword v3, s[12:15], 0 idxen lds                // 000000004C08: E0512000 80030003
	s_add_u32 s78, 0x1800, s78                                 // 000000004C10: 804E4EFF 00001800
	s_add_u32 s79, 0x1800, s79                                 // 000000004C18: 804F4FFF 00001800
	s_add_u32 s80, 0x1800, s80                                 // 000000004C20: 805050FF 00001800
	s_mul_i32 s60, 4, s6                                       // 000000004C28: 923C0684
	v_add_u32_e32 v1, s60, v1                                  // 000000004C2C: 6802023C
	v_add_u32_e32 v2, s60, v2                                  // 000000004C30: 6804043C
	v_add_u32_e32 v3, s60, v3                                  // 000000004C34: 6806063C
	s_mov_b32 m0, s78                                          // 000000004C38: BEFC004E
	buffer_load_dwordx4 v1, s[12:15], 0 idxen lds              // 000000004C3C: E05D2000 80030001
	s_mov_b32 m0, s79                                          // 000000004C44: BEFC004F
	buffer_load_dword v2, s[12:15], 0 idxen lds                // 000000004C48: E0512000 80030002
	s_mov_b32 m0, s80                                          // 000000004C50: BEFC0050
	buffer_load_dword v3, s[12:15], 0 idxen lds                // 000000004C54: E0512000 80030003
	s_add_u32 s78, 0x1800, s78                                 // 000000004C5C: 804E4EFF 00001800
	s_add_u32 s79, 0x1800, s79                                 // 000000004C64: 804F4FFF 00001800
	s_add_u32 s80, 0x1800, s80                                 // 000000004C6C: 805050FF 00001800
	s_mul_i32 s60, 4, s6                                       // 000000004C74: 923C0684
	v_add_u32_e32 v1, s60, v1                                  // 000000004C78: 6802023C
	v_add_u32_e32 v2, s60, v2                                  // 000000004C7C: 6804043C
	v_add_u32_e32 v3, s60, v3                                  // 000000004C80: 6806063C
	s_waitcnt vmcnt(16) lgkmcnt(0)                             // 000000004C84: BF8C4070
	s_barrier                                                  // 000000004C88: BF8A0000
	ds_read_b128 a[80:83], v18 offset:16384                    // 000000004C8C: DBFE4000 50000012
	ds_read_b128 a[84:87], v18 offset:17408                    // 000000004C94: DBFE4400 54000012
	ds_read_b128 a[88:91], v18 offset:18432                    // 000000004C9C: DBFE4800 58000012
	ds_read_b128 a[92:95], v18 offset:19456                    // 000000004CA4: DBFE4C00 5C000012
	s_waitcnt lgkmcnt(0)                                       // 000000004CAC: BF8CC07F
	s_barrier                                                  // 000000004CB0: BF8A0000
	s_mov_b32 m0, s78                                          // 000000004CB4: BEFC004E
	buffer_load_dwordx4 v1, s[12:15], 0 idxen lds              // 000000004CB8: E05D2000 80030001
	s_mov_b32 m0, s79                                          // 000000004CC0: BEFC004F
	buffer_load_dword v2, s[12:15], 0 idxen lds                // 000000004CC4: E0512000 80030002
	s_mov_b32 m0, s80                                          // 000000004CCC: BEFC0050
	buffer_load_dword v3, s[12:15], 0 idxen lds                // 000000004CD0: E0512000 80030003
	s_add_u32 s78, 0x1800, s78                                 // 000000004CD8: 804E4EFF 00001800
	s_add_u32 s79, 0x1800, s79                                 // 000000004CE0: 804F4FFF 00001800
	s_add_u32 s80, 0x1800, s80                                 // 000000004CE8: 805050FF 00001800
	s_mul_i32 s60, 4, s6                                       // 000000004CF0: 923C0684
	v_add_u32_e32 v1, s60, v1                                  // 000000004CF4: 6802023C
	v_add_u32_e32 v2, s60, v2                                  // 000000004CF8: 6804043C
	v_add_u32_e32 v3, s60, v3                                  // 000000004CFC: 6806063C
	s_mov_b32 m0, s78                                          // 000000004D00: BEFC004E
	buffer_load_dwordx4 v1, s[12:15], 0 idxen lds              // 000000004D04: E05D2000 80030001
	s_mov_b32 m0, s79                                          // 000000004D0C: BEFC004F
	buffer_load_dword v2, s[12:15], 0 idxen lds                // 000000004D10: E0512000 80030002
	s_mov_b32 m0, s80                                          // 000000004D18: BEFC0050
	buffer_load_dword v3, s[12:15], 0 idxen lds                // 000000004D1C: E0512000 80030003
	s_add_u32 s78, 0x1800, s78                                 // 000000004D24: 804E4EFF 00001800
	s_add_u32 s79, 0x1800, s79                                 // 000000004D2C: 804F4FFF 00001800
	s_add_u32 s80, 0x1800, s80                                 // 000000004D34: 805050FF 00001800
	s_mul_i32 s60, 4, s6                                       // 000000004D3C: 923C0684
	v_add_u32_e32 v1, s60, v1                                  // 000000004D40: 6802023C
	v_add_u32_e32 v2, s60, v2                                  // 000000004D44: 6804043C
	v_add_u32_e32 v3, s60, v3                                  // 000000004D48: 6806063C
	s_mov_b32 m0, s78                                          // 000000004D4C: BEFC004E
	buffer_load_dwordx4 v1, s[12:15], 0 idxen lds              // 000000004D50: E05D2000 80030001
	s_mov_b32 m0, s79                                          // 000000004D58: BEFC004F
	buffer_load_dword v2, s[12:15], 0 idxen lds                // 000000004D5C: E0512000 80030002
	s_mov_b32 m0, s80                                          // 000000004D64: BEFC0050
	buffer_load_dword v3, s[12:15], 0 idxen lds                // 000000004D68: E0512000 80030003
	s_add_u32 s78, 0x1800, s78                                 // 000000004D70: 804E4EFF 00001800
	s_add_u32 s79, 0x1800, s79                                 // 000000004D78: 804F4FFF 00001800
	s_add_u32 s80, 0x1800, s80                                 // 000000004D80: 805050FF 00001800
	s_mul_i32 s60, 4, s6                                       // 000000004D88: 923C0684
	v_add_u32_e32 v1, s60, v1                                  // 000000004D8C: 6802023C
	v_add_u32_e32 v2, s60, v2                                  // 000000004D90: 6804043C
	v_add_u32_e32 v3, s60, v3                                  // 000000004D94: 6806063C
	s_mov_b32 m0, s78                                          // 000000004D98: BEFC004E
	buffer_load_dwordx4 v1, s[12:15], 0 idxen lds              // 000000004D9C: E05D2000 80030001
	s_mov_b32 m0, s79                                          // 000000004DA4: BEFC004F
	buffer_load_dword v2, s[12:15], 0 idxen lds                // 000000004DA8: E0512000 80030002
	s_mov_b32 m0, s80                                          // 000000004DB0: BEFC0050
	buffer_load_dword v3, s[12:15], 0 idxen lds                // 000000004DB4: E0512000 80030003
	s_add_u32 s78, 0x1800, s78                                 // 000000004DBC: 804E4EFF 00001800
	s_add_u32 s79, 0x1800, s79                                 // 000000004DC4: 804F4FFF 00001800
	s_add_u32 s80, 0x1800, s80                                 // 000000004DCC: 805050FF 00001800
	s_mul_i32 s60, 4, s6                                       // 000000004DD4: 923C0684
	v_add_u32_e32 v1, s60, v1                                  // 000000004DD8: 6802023C
	v_add_u32_e32 v2, s60, v2                                  // 000000004DDC: 6804043C
	v_add_u32_e32 v3, s60, v3                                  // 000000004DE0: 6806063C
	s_waitcnt vmcnt(24) lgkmcnt(0)                             // 000000004DE4: BF8C4078
	s_barrier                                                  // 000000004DE8: BF8A0000
	ds_read_b128 a[96:99], v18 offset:32768                    // 000000004DEC: DBFE8000 60000012
	ds_read_b128 a[100:103], v18 offset:33792                  // 000000004DF4: DBFE8400 64000012
	ds_read_b128 a[104:107], v18 offset:34816                  // 000000004DFC: DBFE8800 68000012
	ds_read_b128 a[108:111], v18 offset:35840                  // 000000004E04: DBFE8C00 6C000012
	s_waitcnt lgkmcnt(0)                                       // 000000004E0C: BF8CC07F
	s_barrier                                                  // 000000004E10: BF8A0000
	s_mov_b32 m0, s78                                          // 000000004E14: BEFC004E
	buffer_load_dwordx4 v1, s[12:15], 0 idxen lds              // 000000004E18: E05D2000 80030001
	s_mov_b32 m0, s79                                          // 000000004E20: BEFC004F
	buffer_load_dword v2, s[12:15], 0 idxen lds                // 000000004E24: E0512000 80030002
	s_mov_b32 m0, s80                                          // 000000004E2C: BEFC0050
	buffer_load_dword v3, s[12:15], 0 idxen lds                // 000000004E30: E0512000 80030003
	s_add_u32 s78, 0x1800, s78                                 // 000000004E38: 804E4EFF 00001800
	s_add_u32 s79, 0x1800, s79                                 // 000000004E40: 804F4FFF 00001800
	s_add_u32 s80, 0x1800, s80                                 // 000000004E48: 805050FF 00001800
	s_mul_i32 s60, 4, s6                                       // 000000004E50: 923C0684
	v_add_u32_e32 v1, s60, v1                                  // 000000004E54: 6802023C
	v_add_u32_e32 v2, s60, v2                                  // 000000004E58: 6804043C
	v_add_u32_e32 v3, s60, v3                                  // 000000004E5C: 6806063C
	s_mov_b32 m0, s78                                          // 000000004E60: BEFC004E
	buffer_load_dwordx4 v1, s[12:15], 0 idxen lds              // 000000004E64: E05D2000 80030001
	s_mov_b32 m0, s79                                          // 000000004E6C: BEFC004F
	buffer_load_dword v2, s[12:15], 0 idxen lds                // 000000004E70: E0512000 80030002
	s_mov_b32 m0, s80                                          // 000000004E78: BEFC0050
	buffer_load_dword v3, s[12:15], 0 idxen lds                // 000000004E7C: E0512000 80030003
	s_add_u32 s78, 0x1800, s78                                 // 000000004E84: 804E4EFF 00001800
	s_add_u32 s79, 0x1800, s79                                 // 000000004E8C: 804F4FFF 00001800
	s_add_u32 s80, 0x1800, s80                                 // 000000004E94: 805050FF 00001800
	s_mul_i32 s60, 4, s6                                       // 000000004E9C: 923C0684
	v_add_u32_e32 v1, s60, v1                                  // 000000004EA0: 6802023C
	v_add_u32_e32 v2, s60, v2                                  // 000000004EA4: 6804043C
	v_add_u32_e32 v3, s60, v3                                  // 000000004EA8: 6806063C
	s_mov_b32 m0, s78                                          // 000000004EAC: BEFC004E
	buffer_load_dwordx4 v1, s[12:15], 0 idxen lds              // 000000004EB0: E05D2000 80030001
	s_mov_b32 m0, s79                                          // 000000004EB8: BEFC004F
	buffer_load_dword v2, s[12:15], 0 idxen lds                // 000000004EBC: E0512000 80030002
	s_mov_b32 m0, s80                                          // 000000004EC4: BEFC0050
	buffer_load_dword v3, s[12:15], 0 idxen lds                // 000000004EC8: E0512000 80030003
	s_add_u32 s78, 0x1800, s78                                 // 000000004ED0: 804E4EFF 00001800
	s_add_u32 s79, 0x1800, s79                                 // 000000004ED8: 804F4FFF 00001800
	s_add_u32 s80, 0x1800, s80                                 // 000000004EE0: 805050FF 00001800
	s_mul_i32 s60, 4, s6                                       // 000000004EE8: 923C0684
	v_add_u32_e32 v1, s60, v1                                  // 000000004EEC: 6802023C
	v_add_u32_e32 v2, s60, v2                                  // 000000004EF0: 6804043C
	v_add_u32_e32 v3, s60, v3                                  // 000000004EF4: 6806063C
	s_mov_b32 m0, s78                                          // 000000004EF8: BEFC004E
	buffer_load_dwordx4 v1, s[12:15], 0 idxen lds              // 000000004EFC: E05D2000 80030001
	s_mov_b32 m0, s79                                          // 000000004F04: BEFC004F
	buffer_load_dword v2, s[12:15], 0 idxen lds                // 000000004F08: E0512000 80030002
	s_mov_b32 m0, s80                                          // 000000004F10: BEFC0050
	buffer_load_dword v3, s[12:15], 0 idxen lds                // 000000004F14: E0512000 80030003
	s_add_u32 s78, 0x1800, s78                                 // 000000004F1C: 804E4EFF 00001800
	s_add_u32 s79, 0x1800, s79                                 // 000000004F24: 804F4FFF 00001800
	s_add_u32 s80, 0x1800, s80                                 // 000000004F2C: 805050FF 00001800
	s_mul_i32 s60, 4, s6                                       // 000000004F34: 923C0684
	v_add_u32_e32 v1, s60, v1                                  // 000000004F38: 6802023C
	v_add_u32_e32 v2, s60, v2                                  // 000000004F3C: 6804043C
	v_add_u32_e32 v3, s60, v3                                  // 000000004F40: 6806063C
	s_lshr_b32 s60, s46, 1                                     // 000000004F44: 8F3C812E
	s_lshl_b32 s60, s60, 8                                     // 000000004F48: 8E3C883C
	s_add_u32 s78, 0x9300, s60                                 // 000000004F4C: 804E3CFF 00009300
	s_add_u32 s79, 0x200, s78                                  // 000000004F54: 804F4EFF 00000200
	s_add_u32 s80, 0x200, s79                                  // 000000004F5C: 80504FFF 00000200
	s_mul_i32 s60, s46, 0x400                                  // 000000004F64: 923CFF2E 00000400
	s_add_u32 s90, 0x4800, s60                                 // 000000004F6C: 805A3CFF 00004800
	s_add_u32 s91, 0x1000, s90                                 // 000000004F74: 805B5AFF 00001000
	s_add_u32 s92, 0x1000, s91                                 // 000000004F7C: 805C5BFF 00001000
	s_mul_i32 s61, s46, 0x100                                  // 000000004F84: 923DFF2E 00000100
	s_add_u32 s81, 0, s60                                      // 000000004F8C: 80513C80
	s_add_u32 s82, 0, s61                                      // 000000004F90: 80523D80
	s_add_u32 s82, 0x1000, s82                                 // 000000004F94: 805252FF 00001000
	s_add_u32 s83, 0x400, s82                                  // 000000004F9C: 805352FF 00000400
	s_add_u32 s84, 0x1800, s81                                 // 000000004FA4: 805451FF 00001800
	s_add_u32 s85, 0x1800, s82                                 // 000000004FAC: 805552FF 00001800
	s_add_u32 s86, 0x1800, s83                                 // 000000004FB4: 805653FF 00001800
	s_add_u32 s87, 0x1800, s84                                 // 000000004FBC: 805754FF 00001800
	s_add_u32 s88, 0x1800, s85                                 // 000000004FC4: 805855FF 00001800
	s_add_u32 s89, 0x1800, s86                                 // 000000004FCC: 805956FF 00001800
	v_add_u32_e32 v17, 0xc000, v17                             // 000000004FD4: 682222FF 0000C000
	v_add_u32_e32 v19, 0xc000, v19                             // 000000004FDC: 682626FF 0000C000
	v_add_u32_e32 v20, 0xc000, v20                             // 000000004FE4: 682828FF 0000C000
	v_add_u32_e32 v21, 0xc000, v21                             // 000000004FEC: 682A2AFF 0000C000
	s_mov_b32 s71, s5                                          // 000000004FF4: BEC70005
	v_and_b32_e32 v32, 3, v0                                   // 000000004FF8: 26400083
	v_and_b32_e32 v33, 1, v32                                  // 000000004FFC: 26424081
	v_lshrrev_b32_e32 v34, 1, v32                              // 000000005000: 20444081
	v_lshrrev_b32_e32 v32, 5, v0                               // 000000005004: 20400085
	v_xor_b32_e32 v34, v34, v32                                // 000000005008: 2A444122
	v_lshlrev_b32_e32 v34, 1, v34                              // 00000000500C: 24444481
	v_add_u32_e32 v33, v34, v33                                // 000000005010: 68424322
	v_lshlrev_b32_e32 v33, 4, v33                              // 000000005014: 24424284
	v_lshrrev_b32_e32 v32, 2, v0                               // 000000005018: 20400082
	v_mul_i32_i24_e32 v32, s71, v32                            // 00000000501C: 0C404047
	v_add_u32_e32 v1, v32, v33                                 // 000000005020: 68024320
	s_mul_i32 s60, s46, 64                                     // 000000005024: 923CC02E
	v_add_u32_e32 v1, s60, v1                                  // 000000005028: 6802023C
	v_and_b32_e32 v32, 7, v0                                   // 00000000502C: 26400087
	v_lshrrev_b32_e32 v33, 3, v0                               // 000000005030: 20420083
	v_and_b32_e32 v33, 1, v33                                  // 000000005034: 26424281
	s_lshr_b32 s60, s46, 1                                     // 000000005038: 8F3C812E
	v_xor_b32_e64 v33, v33, s60                                // 00000000503C: D1150021 00007921
	v_lshlrev_b32_e32 v33, 3, v33                              // 000000005044: 24424283
	v_add_u32_e32 v32, v32, v33                                // 000000005048: 68404320
	v_lshlrev_b32_e32 v32, 2, v32                              // 00000000504C: 24404082
	s_mul_i32 s60, s46, 4                                      // 000000005050: 923C842E
	v_lshrrev_b32_e32 v33, 4, v0                               // 000000005054: 20420084
	v_add_u32_e64 v33, v33, s60                                // 000000005058: D1340021 00007921
	v_mul_i32_i24_e32 v33, s71, v33                            // 000000005060: 0C424247
	v_add_u32_e32 v2, v32, v33                                 // 000000005064: 68044320
	s_mov_b32 s60, 0x100                                       // 000000005068: BEBC00FF 00000100
	v_add_u32_e64 v2, v2, s60                                  // 000000005070: D1340002 00007902
	v_add_u32_e64 v3, v2, 64                                   // 000000005078: D1340003 00018102
	s_mov_b32 s71, s51                                         // 000000005080: BEC70033
	v_and_b32_e32 v32, 3, v0                                   // 000000005084: 26400083
	v_and_b32_e32 v33, 1, v32                                  // 000000005088: 26424081
	v_lshrrev_b32_e32 v34, 1, v32                              // 00000000508C: 20444081
	v_lshrrev_b32_e32 v32, 5, v0                               // 000000005090: 20400085
	v_xor_b32_e32 v34, v34, v32                                // 000000005094: 2A444122
	v_lshlrev_b32_e32 v34, 1, v34                              // 000000005098: 24444481
	v_add_u32_e32 v33, v34, v33                                // 00000000509C: 68424322
	v_lshlrev_b32_e32 v33, 4, v33                              // 0000000050A0: 24424284
	v_lshrrev_b32_e32 v32, 2, v0                               // 0000000050A4: 20400082
	v_mul_i32_i24_e32 v32, s71, v32                            // 0000000050A8: 0C404047
	v_add_u32_e32 v4, v32, v33                                 // 0000000050AC: 68084320
	s_mul_i32 s60, s46, 64                                     // 0000000050B0: 923CC02E
	v_add_u32_e32 v4, s60, v4                                  // 0000000050B4: 6808083C
	s_mul_i32 s60, s5, s59                                     // 0000000050B8: 923C3B05
	v_add_u32_e32 v1, s60, v1                                  // 0000000050BC: 6802023C
	v_add_u32_e32 v2, s60, v2                                  // 0000000050C0: 6804043C
	v_add_u32_e32 v3, s60, v3                                  // 0000000050C4: 6806063C
	s_mul_i32 s60, s51, s59                                    // 0000000050C8: 923C3B33
	v_add_u32_e32 v4, s60, v4                                  // 0000000050CC: 6808083C
	v_lshrrev_b32_e32 v1, 2, v1                                // 0000000050D0: 20020282
	v_lshrrev_b32_e32 v2, 2, v2                                // 0000000050D4: 20040482
	v_lshrrev_b32_e32 v3, 2, v3                                // 0000000050D8: 20060682
	v_lshrrev_b32_e32 v4, 2, v4                                // 0000000050DC: 20080882
	s_mov_b32 m0, s81                                          // 0000000050E0: BEFC0051
	buffer_load_dwordx4 v1, s[8:11], 0 idxen lds               // 0000000050E4: E05D2000 80020001
	s_mov_b32 m0, s82                                          // 0000000050EC: BEFC0052
	buffer_load_dword v2, s[8:11], 0 idxen lds                 // 0000000050F0: E0512000 80020002
	s_mov_b32 m0, s83                                          // 0000000050F8: BEFC0053
	buffer_load_dword v3, s[8:11], 0 idxen lds                 // 0000000050FC: E0512000 80020003
	s_mov_b32 m0, s90                                          // 000000005104: BEFC005A
	buffer_load_dwordx4 v4, s[20:23], 0 idxen lds              // 000000005108: E05D2000 80050004
	s_mov_b32 m0, s78                                          // 000000005110: BEFC004E
	buffer_load_dword v11, s[24:27], 0 idxen lds               // 000000005114: E0512000 8006000B
	v_add_u32_e32 v1, s68, v1                                  // 00000000511C: 68020244
	v_add_u32_e32 v2, s68, v2                                  // 000000005120: 68040444
	v_add_u32_e32 v3, s68, v3                                  // 000000005124: 68060644
	v_add_u32_e32 v4, s101, v4                                 // 000000005128: 68080865
	v_add_u32_e32 v11, s69, v11                                // 00000000512C: 68161645
	s_mov_b32 m0, s84                                          // 000000005130: BEFC0054
	buffer_load_dwordx4 v1, s[8:11], 0 idxen lds               // 000000005134: E05D2000 80020001
	s_mov_b32 m0, s85                                          // 00000000513C: BEFC0055
	buffer_load_dword v2, s[8:11], 0 idxen lds                 // 000000005140: E0512000 80020002
	s_mov_b32 m0, s86                                          // 000000005148: BEFC0056
	buffer_load_dword v3, s[8:11], 0 idxen lds                 // 00000000514C: E0512000 80020003
	s_mov_b32 m0, s91                                          // 000000005154: BEFC005B
	buffer_load_dwordx4 v4, s[20:23], 0 idxen lds              // 000000005158: E05D2000 80050004
	s_mov_b32 m0, s79                                          // 000000005160: BEFC004F
	buffer_load_dword v11, s[24:27], 0 idxen lds               // 000000005164: E0512000 8006000B
	v_add_u32_e32 v1, s68, v1                                  // 00000000516C: 68020244
	v_add_u32_e32 v2, s68, v2                                  // 000000005170: 68040444
	v_add_u32_e32 v3, s68, v3                                  // 000000005174: 68060644
	v_add_u32_e32 v4, s101, v4                                 // 000000005178: 68080865
	v_add_u32_e32 v11, s69, v11                                // 00000000517C: 68161645
	s_waitcnt vmcnt(5) lgkmcnt(0)                              // 000000005180: BF8C0075
	s_barrier                                                  // 000000005184: BF8A0000
	ds_read_b128 v[224:227], v12                               // 000000005188: D9FE0000 E000000C
	ds_read_b128 v[228:231], v12 offset:1024                   // 000000005190: D9FE0400 E400000C
	ds_read_b128 v[232:235], v12 offset:2048                   // 000000005198: D9FE0800 E800000C
	ds_read_b128 v[236:239], v12 offset:3072                   // 0000000051A0: D9FE0C00 EC00000C
	ds_read_b128 v[240:243], v12 offset:4096                   // 0000000051A8: D9FE1000 F000000C
	ds_read_b128 v[244:247], v12 offset:5120                   // 0000000051B0: D9FE1400 F400000C
	ds_read_b32 v104, v16 offset:37632                         // 0000000051B8: D86C9300 68000010
	ds_read_b32 v126, v16 offset:37888                         // 0000000051C0: D86C9400 7E000010
	ds_read_b128 a[0:3], v17                                   // 0000000051C8: DBFE0000 00000011
	ds_read_b128 a[4:7], v17 offset:1024                       // 0000000051D0: DBFE0400 04000011
	ds_read_b128 a[8:11], v17 offset:2048                      // 0000000051D8: DBFE0800 08000011
	ds_read_b128 a[12:15], v17 offset:3072                     // 0000000051E0: DBFE0C00 0C000011
	ds_read_b128 a[16:19], v17 offset:4096                     // 0000000051E8: DBFE1000 10000011
	ds_read_b128 a[20:23], v17 offset:5120                     // 0000000051F0: DBFE1400 14000011
	ds_read_b128 a[24:27], v17 offset:24576                    // 0000000051F8: DBFE6000 18000011
	ds_read_b128 a[28:31], v17 offset:25600                    // 000000005200: DBFE6400 1C000011
	ds_read_b128 a[32:35], v17 offset:26624                    // 000000005208: DBFE6800 20000011
	ds_read_b128 a[36:39], v17 offset:27648                    // 000000005210: DBFE6C00 24000011
	ds_read_b128 a[40:43], v17 offset:28672                    // 000000005218: DBFE7000 28000011
	ds_read_b128 a[44:47], v17 offset:29696                    // 000000005220: DBFE7400 2C000011
	v_accvgpr_write_b32 a112, 0                                // 000000005228: D3D94070 18000080
	v_accvgpr_write_b32 a113, 0                                // 000000005230: D3D94071 18000080
	v_accvgpr_write_b32 a114, 0                                // 000000005238: D3D94072 18000080
	v_accvgpr_write_b32 a115, 0                                // 000000005240: D3D94073 18000080
	v_accvgpr_write_b32 a116, 0                                // 000000005248: D3D94074 18000080
	v_accvgpr_write_b32 a117, 0                                // 000000005250: D3D94075 18000080
	v_accvgpr_write_b32 a118, 0                                // 000000005258: D3D94076 18000080
	v_accvgpr_write_b32 a119, 0                                // 000000005260: D3D94077 18000080
	v_accvgpr_write_b32 a120, 0                                // 000000005268: D3D94078 18000080
	v_accvgpr_write_b32 a121, 0                                // 000000005270: D3D94079 18000080
	v_accvgpr_write_b32 a122, 0                                // 000000005278: D3D9407A 18000080
	v_accvgpr_write_b32 a123, 0                                // 000000005280: D3D9407B 18000080
	v_accvgpr_write_b32 a124, 0                                // 000000005288: D3D9407C 18000080
	v_accvgpr_write_b32 a125, 0                                // 000000005290: D3D9407D 18000080
	v_accvgpr_write_b32 a126, 0                                // 000000005298: D3D9407E 18000080
	v_accvgpr_write_b32 a127, 0                                // 0000000052A0: D3D9407F 18000080
	v_accvgpr_write_b32 a128, 0                                // 0000000052A8: D3D94080 18000080
	v_accvgpr_write_b32 a129, 0                                // 0000000052B0: D3D94081 18000080
	v_accvgpr_write_b32 a130, 0                                // 0000000052B8: D3D94082 18000080
	v_accvgpr_write_b32 a131, 0                                // 0000000052C0: D3D94083 18000080
	v_accvgpr_write_b32 a132, 0                                // 0000000052C8: D3D94084 18000080
	v_accvgpr_write_b32 a133, 0                                // 0000000052D0: D3D94085 18000080
	v_accvgpr_write_b32 a134, 0                                // 0000000052D8: D3D94086 18000080
	v_accvgpr_write_b32 a135, 0                                // 0000000052E0: D3D94087 18000080
	v_accvgpr_write_b32 a136, 0                                // 0000000052E8: D3D94088 18000080
	v_accvgpr_write_b32 a137, 0                                // 0000000052F0: D3D94089 18000080
	v_accvgpr_write_b32 a138, 0                                // 0000000052F8: D3D9408A 18000080
	v_accvgpr_write_b32 a139, 0                                // 000000005300: D3D9408B 18000080
	v_accvgpr_write_b32 a140, 0                                // 000000005308: D3D9408C 18000080
	v_accvgpr_write_b32 a141, 0                                // 000000005310: D3D9408D 18000080
	v_accvgpr_write_b32 a142, 0                                // 000000005318: D3D9408E 18000080
	v_accvgpr_write_b32 a143, 0                                // 000000005320: D3D9408F 18000080
	v_accvgpr_write_b32 a144, 0                                // 000000005328: D3D94090 18000080
	v_accvgpr_write_b32 a145, 0                                // 000000005330: D3D94091 18000080
	v_accvgpr_write_b32 a146, 0                                // 000000005338: D3D94092 18000080
	v_accvgpr_write_b32 a147, 0                                // 000000005340: D3D94093 18000080
	v_accvgpr_write_b32 a148, 0                                // 000000005348: D3D94094 18000080
	v_accvgpr_write_b32 a149, 0                                // 000000005350: D3D94095 18000080
	v_accvgpr_write_b32 a150, 0                                // 000000005358: D3D94096 18000080
	v_accvgpr_write_b32 a151, 0                                // 000000005360: D3D94097 18000080
	v_accvgpr_write_b32 a152, 0                                // 000000005368: D3D94098 18000080
	v_accvgpr_write_b32 a153, 0                                // 000000005370: D3D94099 18000080
	v_accvgpr_write_b32 a154, 0                                // 000000005378: D3D9409A 18000080
	v_accvgpr_write_b32 a155, 0                                // 000000005380: D3D9409B 18000080
	v_accvgpr_write_b32 a156, 0                                // 000000005388: D3D9409C 18000080
	v_accvgpr_write_b32 a157, 0                                // 000000005390: D3D9409D 18000080
	v_accvgpr_write_b32 a158, 0                                // 000000005398: D3D9409E 18000080
	v_accvgpr_write_b32 a159, 0                                // 0000000053A0: D3D9409F 18000080
	v_accvgpr_write_b32 a160, 0                                // 0000000053A8: D3D940A0 18000080
	v_accvgpr_write_b32 a161, 0                                // 0000000053B0: D3D940A1 18000080
	v_accvgpr_write_b32 a162, 0                                // 0000000053B8: D3D940A2 18000080
	v_accvgpr_write_b32 a163, 0                                // 0000000053C0: D3D940A3 18000080
	v_accvgpr_write_b32 a164, 0                                // 0000000053C8: D3D940A4 18000080
	v_accvgpr_write_b32 a165, 0                                // 0000000053D0: D3D940A5 18000080
	v_accvgpr_write_b32 a166, 0                                // 0000000053D8: D3D940A6 18000080
	v_accvgpr_write_b32 a167, 0                                // 0000000053E0: D3D940A7 18000080
	v_accvgpr_write_b32 a168, 0                                // 0000000053E8: D3D940A8 18000080
	v_accvgpr_write_b32 a169, 0                                // 0000000053F0: D3D940A9 18000080
	v_accvgpr_write_b32 a170, 0                                // 0000000053F8: D3D940AA 18000080
	v_accvgpr_write_b32 a171, 0                                // 000000005400: D3D940AB 18000080
	v_accvgpr_write_b32 a172, 0                                // 000000005408: D3D940AC 18000080
	v_accvgpr_write_b32 a173, 0                                // 000000005410: D3D940AD 18000080
	v_accvgpr_write_b32 a174, 0                                // 000000005418: D3D940AE 18000080
	v_accvgpr_write_b32 a175, 0                                // 000000005420: D3D940AF 18000080
	v_accvgpr_write_b32 a176, 0                                // 000000005428: D3D940B0 18000080
	v_accvgpr_write_b32 a177, 0                                // 000000005430: D3D940B1 18000080
	v_accvgpr_write_b32 a178, 0                                // 000000005438: D3D940B2 18000080
	v_accvgpr_write_b32 a179, 0                                // 000000005440: D3D940B3 18000080
	v_accvgpr_write_b32 a180, 0                                // 000000005448: D3D940B4 18000080
	v_accvgpr_write_b32 a181, 0                                // 000000005450: D3D940B5 18000080
	v_accvgpr_write_b32 a182, 0                                // 000000005458: D3D940B6 18000080
	v_accvgpr_write_b32 a183, 0                                // 000000005460: D3D940B7 18000080
	v_accvgpr_write_b32 a184, 0                                // 000000005468: D3D940B8 18000080
	v_accvgpr_write_b32 a185, 0                                // 000000005470: D3D940B9 18000080
	v_accvgpr_write_b32 a186, 0                                // 000000005478: D3D940BA 18000080
	v_accvgpr_write_b32 a187, 0                                // 000000005480: D3D940BB 18000080
	v_accvgpr_write_b32 a188, 0                                // 000000005488: D3D940BC 18000080
	v_accvgpr_write_b32 a189, 0                                // 000000005490: D3D940BD 18000080
	v_accvgpr_write_b32 a190, 0                                // 000000005498: D3D940BE 18000080
	v_accvgpr_write_b32 a191, 0                                // 0000000054A0: D3D940BF 18000080
	v_accvgpr_write_b32 a192, 0                                // 0000000054A8: D3D940C0 18000080
	v_accvgpr_write_b32 a193, 0                                // 0000000054B0: D3D940C1 18000080
	v_accvgpr_write_b32 a194, 0                                // 0000000054B8: D3D940C2 18000080
	v_accvgpr_write_b32 a195, 0                                // 0000000054C0: D3D940C3 18000080
	v_accvgpr_write_b32 a196, 0                                // 0000000054C8: D3D940C4 18000080
	v_accvgpr_write_b32 a197, 0                                // 0000000054D0: D3D940C5 18000080
	v_accvgpr_write_b32 a198, 0                                // 0000000054D8: D3D940C6 18000080
	v_accvgpr_write_b32 a199, 0                                // 0000000054E0: D3D940C7 18000080
	v_accvgpr_write_b32 a200, 0                                // 0000000054E8: D3D940C8 18000080
	v_accvgpr_write_b32 a201, 0                                // 0000000054F0: D3D940C9 18000080
	v_accvgpr_write_b32 a202, 0                                // 0000000054F8: D3D940CA 18000080
	v_accvgpr_write_b32 a203, 0                                // 000000005500: D3D940CB 18000080
	v_accvgpr_write_b32 a204, 0                                // 000000005508: D3D940CC 18000080
	v_accvgpr_write_b32 a205, 0                                // 000000005510: D3D940CD 18000080
	v_accvgpr_write_b32 a206, 0                                // 000000005518: D3D940CE 18000080
	v_accvgpr_write_b32 a207, 0                                // 000000005520: D3D940CF 18000080
	v_accvgpr_write_b32 a208, 0                                // 000000005528: D3D940D0 18000080
	v_accvgpr_write_b32 a209, 0                                // 000000005530: D3D940D1 18000080
	v_accvgpr_write_b32 a210, 0                                // 000000005538: D3D940D2 18000080
	v_accvgpr_write_b32 a211, 0                                // 000000005540: D3D940D3 18000080
	v_accvgpr_write_b32 a212, 0                                // 000000005548: D3D940D4 18000080
	v_accvgpr_write_b32 a213, 0                                // 000000005550: D3D940D5 18000080
	v_accvgpr_write_b32 a214, 0                                // 000000005558: D3D940D6 18000080
	v_accvgpr_write_b32 a215, 0                                // 000000005560: D3D940D7 18000080
	v_accvgpr_write_b32 a216, 0                                // 000000005568: D3D940D8 18000080
	v_accvgpr_write_b32 a217, 0                                // 000000005570: D3D940D9 18000080
	v_accvgpr_write_b32 a218, 0                                // 000000005578: D3D940DA 18000080
	v_accvgpr_write_b32 a219, 0                                // 000000005580: D3D940DB 18000080
	v_accvgpr_write_b32 a220, 0                                // 000000005588: D3D940DC 18000080
	v_accvgpr_write_b32 a221, 0                                // 000000005590: D3D940DD 18000080
	v_accvgpr_write_b32 a222, 0                                // 000000005598: D3D940DE 18000080
	v_accvgpr_write_b32 a223, 0                                // 0000000055A0: D3D940DF 18000080
	v_accvgpr_write_b32 a224, 0                                // 0000000055A8: D3D940E0 18000080
	v_accvgpr_write_b32 a225, 0                                // 0000000055B0: D3D940E1 18000080
	v_accvgpr_write_b32 a226, 0                                // 0000000055B8: D3D940E2 18000080
	v_accvgpr_write_b32 a227, 0                                // 0000000055C0: D3D940E3 18000080
	v_accvgpr_write_b32 a228, 0                                // 0000000055C8: D3D940E4 18000080
	v_accvgpr_write_b32 a229, 0                                // 0000000055D0: D3D940E5 18000080
	v_accvgpr_write_b32 a230, 0                                // 0000000055D8: D3D940E6 18000080
	v_accvgpr_write_b32 a231, 0                                // 0000000055E0: D3D940E7 18000080
	v_accvgpr_write_b32 a232, 0                                // 0000000055E8: D3D940E8 18000080
	v_accvgpr_write_b32 a233, 0                                // 0000000055F0: D3D940E9 18000080
	v_accvgpr_write_b32 a234, 0                                // 0000000055F8: D3D940EA 18000080
	v_accvgpr_write_b32 a235, 0                                // 000000005600: D3D940EB 18000080
	v_accvgpr_write_b32 a236, 0                                // 000000005608: D3D940EC 18000080
	v_accvgpr_write_b32 a237, 0                                // 000000005610: D3D940ED 18000080
	v_accvgpr_write_b32 a238, 0                                // 000000005618: D3D940EE 18000080
	v_accvgpr_write_b32 a239, 0                                // 000000005620: D3D940EF 18000080
	v_accvgpr_write_b32 a240, 0                                // 000000005628: D3D940F0 18000080
	v_accvgpr_write_b32 a241, 0                                // 000000005630: D3D940F1 18000080
	v_accvgpr_write_b32 a242, 0                                // 000000005638: D3D940F2 18000080
	v_accvgpr_write_b32 a243, 0                                // 000000005640: D3D940F3 18000080
	v_accvgpr_write_b32 a244, 0                                // 000000005648: D3D940F4 18000080
	v_accvgpr_write_b32 a245, 0                                // 000000005650: D3D940F5 18000080
	v_accvgpr_write_b32 a246, 0                                // 000000005658: D3D940F6 18000080
	v_accvgpr_write_b32 a247, 0                                // 000000005660: D3D940F7 18000080
	v_accvgpr_write_b32 a248, 0                                // 000000005668: D3D940F8 18000080
	v_accvgpr_write_b32 a249, 0                                // 000000005670: D3D940F9 18000080
	v_accvgpr_write_b32 a250, 0                                // 000000005678: D3D940FA 18000080
	v_accvgpr_write_b32 a251, 0                                // 000000005680: D3D940FB 18000080
	v_accvgpr_write_b32 a252, 0                                // 000000005688: D3D940FC 18000080
	v_accvgpr_write_b32 a253, 0                                // 000000005690: D3D940FD 18000080
	v_accvgpr_write_b32 a254, 0                                // 000000005698: D3D940FE 18000080
	v_accvgpr_write_b32 a255, 0                                // 0000000056A0: D3D940FF 18000080
	v_mov_b32_e32 v128, 0                                      // 0000000056A8: 7F000280
	v_mov_b32_e32 v129, 0                                      // 0000000056AC: 7F020280
	v_mov_b32_e32 v130, 0                                      // 0000000056B0: 7F040280
	v_mov_b32_e32 v131, 0                                      // 0000000056B4: 7F060280
	v_mov_b32_e32 v132, 0                                      // 0000000056B8: 7F080280
	v_mov_b32_e32 v133, 0                                      // 0000000056BC: 7F0A0280
	v_mov_b32_e32 v134, 0                                      // 0000000056C0: 7F0C0280
	v_mov_b32_e32 v135, 0                                      // 0000000056C4: 7F0E0280
	v_mov_b32_e32 v136, 0                                      // 0000000056C8: 7F100280
	v_mov_b32_e32 v137, 0                                      // 0000000056CC: 7F120280
	v_mov_b32_e32 v138, 0                                      // 0000000056D0: 7F140280
	v_mov_b32_e32 v139, 0                                      // 0000000056D4: 7F160280
	v_mov_b32_e32 v140, 0                                      // 0000000056D8: 7F180280
	v_mov_b32_e32 v141, 0                                      // 0000000056DC: 7F1A0280
	v_mov_b32_e32 v142, 0                                      // 0000000056E0: 7F1C0280
	v_mov_b32_e32 v143, 0                                      // 0000000056E4: 7F1E0280
	v_mov_b32_e32 v144, 0                                      // 0000000056E8: 7F200280
	v_mov_b32_e32 v145, 0                                      // 0000000056EC: 7F220280
	v_mov_b32_e32 v146, 0                                      // 0000000056F0: 7F240280
	v_mov_b32_e32 v147, 0                                      // 0000000056F4: 7F260280
	v_mov_b32_e32 v148, 0                                      // 0000000056F8: 7F280280
	v_mov_b32_e32 v149, 0                                      // 0000000056FC: 7F2A0280
	v_mov_b32_e32 v150, 0                                      // 000000005700: 7F2C0280
	v_mov_b32_e32 v151, 0                                      // 000000005704: 7F2E0280
	v_mov_b32_e32 v152, 0                                      // 000000005708: 7F300280
	v_mov_b32_e32 v153, 0                                      // 00000000570C: 7F320280
	v_mov_b32_e32 v154, 0                                      // 000000005710: 7F340280
	v_mov_b32_e32 v155, 0                                      // 000000005714: 7F360280
	v_mov_b32_e32 v156, 0                                      // 000000005718: 7F380280
	v_mov_b32_e32 v157, 0                                      // 00000000571C: 7F3A0280
	v_mov_b32_e32 v158, 0                                      // 000000005720: 7F3C0280
	v_mov_b32_e32 v159, 0                                      // 000000005724: 7F3E0280
	v_mov_b32_e32 v160, 0                                      // 000000005728: 7F400280
	v_mov_b32_e32 v161, 0                                      // 00000000572C: 7F420280
	v_mov_b32_e32 v162, 0                                      // 000000005730: 7F440280
	v_mov_b32_e32 v163, 0                                      // 000000005734: 7F460280
	v_mov_b32_e32 v164, 0                                      // 000000005738: 7F480280
	v_mov_b32_e32 v165, 0                                      // 00000000573C: 7F4A0280
	v_mov_b32_e32 v166, 0                                      // 000000005740: 7F4C0280
	v_mov_b32_e32 v167, 0                                      // 000000005744: 7F4E0280
	v_mov_b32_e32 v168, 0                                      // 000000005748: 7F500280
	v_mov_b32_e32 v169, 0                                      // 00000000574C: 7F520280
	v_mov_b32_e32 v170, 0                                      // 000000005750: 7F540280
	v_mov_b32_e32 v171, 0                                      // 000000005754: 7F560280
	v_mov_b32_e32 v172, 0                                      // 000000005758: 7F580280
	v_mov_b32_e32 v173, 0                                      // 00000000575C: 7F5A0280
	v_mov_b32_e32 v174, 0                                      // 000000005760: 7F5C0280
	v_mov_b32_e32 v175, 0                                      // 000000005764: 7F5E0280
	v_mov_b32_e32 v176, 0                                      // 000000005768: 7F600280
	v_mov_b32_e32 v177, 0                                      // 00000000576C: 7F620280
	v_mov_b32_e32 v178, 0                                      // 000000005770: 7F640280
	v_mov_b32_e32 v179, 0                                      // 000000005774: 7F660280
	v_mov_b32_e32 v180, 0                                      // 000000005778: 7F680280
	v_mov_b32_e32 v181, 0                                      // 00000000577C: 7F6A0280
	v_mov_b32_e32 v182, 0                                      // 000000005780: 7F6C0280
	v_mov_b32_e32 v183, 0                                      // 000000005784: 7F6E0280
	v_mov_b32_e32 v184, 0                                      // 000000005788: 7F700280
	v_mov_b32_e32 v185, 0                                      // 00000000578C: 7F720280
	v_mov_b32_e32 v186, 0                                      // 000000005790: 7F740280
	v_mov_b32_e32 v187, 0                                      // 000000005794: 7F760280
	v_mov_b32_e32 v188, 0                                      // 000000005798: 7F780280
	v_mov_b32_e32 v189, 0                                      // 00000000579C: 7F7A0280
	v_mov_b32_e32 v190, 0                                      // 0000000057A0: 7F7C0280
	v_mov_b32_e32 v191, 0                                      // 0000000057A4: 7F7E0280
	v_mov_b32_e32 v192, 0                                      // 0000000057A8: 7F800280
	v_mov_b32_e32 v193, 0                                      // 0000000057AC: 7F820280
	v_mov_b32_e32 v194, 0                                      // 0000000057B0: 7F840280
	v_mov_b32_e32 v195, 0                                      // 0000000057B4: 7F860280
	v_mov_b32_e32 v196, 0                                      // 0000000057B8: 7F880280
	v_mov_b32_e32 v197, 0                                      // 0000000057BC: 7F8A0280
	v_mov_b32_e32 v198, 0                                      // 0000000057C0: 7F8C0280
	v_mov_b32_e32 v199, 0                                      // 0000000057C4: 7F8E0280
	v_mov_b32_e32 v200, 0                                      // 0000000057C8: 7F900280
	v_mov_b32_e32 v201, 0                                      // 0000000057CC: 7F920280
	v_mov_b32_e32 v202, 0                                      // 0000000057D0: 7F940280
	v_mov_b32_e32 v203, 0                                      // 0000000057D4: 7F960280
	v_mov_b32_e32 v204, 0                                      // 0000000057D8: 7F980280
	v_mov_b32_e32 v205, 0                                      // 0000000057DC: 7F9A0280
	v_mov_b32_e32 v206, 0                                      // 0000000057E0: 7F9C0280
	v_mov_b32_e32 v207, 0                                      // 0000000057E4: 7F9E0280
	v_mov_b32_e32 v208, 0                                      // 0000000057E8: 7FA00280
	v_mov_b32_e32 v209, 0                                      // 0000000057EC: 7FA20280
	v_mov_b32_e32 v210, 0                                      // 0000000057F0: 7FA40280
	v_mov_b32_e32 v211, 0                                      // 0000000057F4: 7FA60280
	v_mov_b32_e32 v212, 0                                      // 0000000057F8: 7FA80280
	v_mov_b32_e32 v213, 0                                      // 0000000057FC: 7FAA0280
	v_mov_b32_e32 v214, 0                                      // 000000005800: 7FAC0280
	v_mov_b32_e32 v215, 0                                      // 000000005804: 7FAE0280
	v_mov_b32_e32 v216, 0                                      // 000000005808: 7FB00280
	v_mov_b32_e32 v217, 0                                      // 00000000580C: 7FB20280
	v_mov_b32_e32 v218, 0                                      // 000000005810: 7FB40280
	v_mov_b32_e32 v219, 0                                      // 000000005814: 7FB60280
	v_mov_b32_e32 v220, 0                                      // 000000005818: 7FB80280
	v_mov_b32_e32 v221, 0                                      // 00000000581C: 7FBA0280
	v_mov_b32_e32 v222, 0                                      // 000000005820: 7FBC0280
	v_mov_b32_e32 v223, 0                                      // 000000005824: 7FBE0280
	v_mov_b32_e32 v108, 0                                      // 000000005828: 7ED80280
	v_mov_b32_e32 v109, 0                                      // 00000000582C: 7EDA0280
	v_mov_b32_e32 v110, 0                                      // 000000005830: 7EDC0280
	v_mov_b32_e32 v111, 0                                      // 000000005834: 7EDE0280
	v_mov_b32_e32 v112, 0                                      // 000000005838: 7EE00280
	v_mov_b32_e32 v113, 0                                      // 00000000583C: 7EE20280
	v_mov_b32_e32 v114, 0                                      // 000000005840: 7EE40280
	v_mov_b32_e32 v115, 0                                      // 000000005844: 7EE60280
	v_mov_b32_e32 v116, 0                                      // 000000005848: 7EE80280
	v_mov_b32_e32 v117, 0                                      // 00000000584C: 7EEA0280
	v_mov_b32_e32 v118, 0                                      // 000000005850: 7EEC0280
	v_mov_b32_e32 v119, 0                                      // 000000005854: 7EEE0280
	s_waitcnt vmcnt(0) lgkmcnt(0)                              // 000000005858: BF8C0070
	s_barrier                                                  // 00000000585C: BF8A0000
	s_mov_b32 m0, s87                                          // 000000005860: BEFC0057
	buffer_load_dwordx4 v1, s[8:11], 0 idxen lds               // 000000005864: E05D2000 80020001
	s_mov_b32 m0, s88                                          // 00000000586C: BEFC0058
	buffer_load_dword v2, s[8:11], 0 idxen lds                 // 000000005870: E0512000 80020002
	s_mov_b32 m0, s89                                          // 000000005878: BEFC0059
	buffer_load_dword v3, s[8:11], 0 idxen lds                 // 00000000587C: E0512000 80020003
	s_mov_b32 m0, s92                                          // 000000005884: BEFC005C
	buffer_load_dwordx4 v4, s[20:23], 0 idxen lds              // 000000005888: E05D2000 80050004
	s_mov_b32 m0, s80                                          // 000000005890: BEFC0050
	buffer_load_dword v11, s[24:27], 0 idxen lds               // 000000005894: E0512000 8006000B
	v_mul_f32_e32 v104, s48, v104                              // 00000000589C: 0AD0D030
	v_add_u32_e32 v1, s68, v1                                  // 0000000058A0: 68020244
	v_add_u32_e32 v2, s68, v2                                  // 0000000058A4: 68040444
	v_add_u32_e32 v3, s68, v3                                  // 0000000058A8: 68060644
	v_add_u32_e32 v4, s101, v4                                 // 0000000058AC: 68080865
	v_add_u32_e32 v11, s69, v11                                // 0000000058B0: 68161645
	v_mov_b32_dpp v107, v104 quad_perm:[3,3,3,3] row_mask:0xf bank_mask:0xf// 0000000058B4: 7ED602FA FF00FF68
	v_mov_b32_dpp v106, v104 quad_perm:[2,2,2,2] row_mask:0xf bank_mask:0xf// 0000000058BC: 7ED402FA FF00AA68
	v_mov_b32_dpp v105, v104 quad_perm:[1,1,1,1] row_mask:0xf bank_mask:0xf// 0000000058C4: 7ED202FA FF005568
	v_mov_b32_dpp v104, v104 quad_perm:[0,0,0,0] row_mask:0xf bank_mask:0xf// 0000000058CC: 7ED002FA FF000068
	s_cmp_lt_i32 s46, 2                                        // 0000000058D4: BF04822E
	s_cbranch_scc0 label_0F4F                                  // 0000000058D8: BF840909
	s_nop 0                                                    // 0000000058DC: BF800000
	s_nop 0                                                    // 0000000058E0: BF800000

00000000000058e4 <label_0639>:
	s_waitcnt lgkmcnt(2)                                       // 0000000058E4: BF8CC27F
	v_mfma_f32_16x16x32_f16 v[36:39], v[224:227], a[0:3], 0    // 0000000058E8: D3D40024 120201E0
	ds_read_b128 a[48:51], v17 offset:49152                    // 0000000058F0: DBFEC000 30000011
	ds_read_b128 a[52:55], v17 offset:50176                    // 0000000058F8: DBFEC400 34000011
	v_mfma_f32_16x16x32_f16 v[36:39], v[228:231], a[4:7], v[36:39]// 000000005900: D3D40024 149209E4
	v_add_u32_e32 v7, s66, v7                                  // 000000005908: 680E0E42
	v_add_u32_e32 v8, s66, v8                                  // 00000000590C: 68101042
	v_add_u32_e32 v9, s66, v9                                  // 000000005910: 68121242
	v_mfma_f32_16x16x32_f16 v[36:39], v[232:235], a[8:11], v[36:39]// 000000005914: D3D40024 149211E8
	ds_read_b128 a[56:59], v17 offset:51200                    // 00000000591C: DBFEC800 38000011
	ds_read_b128 a[60:63], v17 offset:52224                    // 000000005924: DBFECC00 3C000011
	v_mfma_f32_16x16x32_f16 v[36:39], v[236:239], a[12:15], v[36:39]// 00000000592C: D3D40024 149219EC
	v_cvt_pk_f16_f32 v108, v108, v109                          // 000000005934: D267006C 0002DB6C
	v_cvt_pk_f16_f32 v109, v110, v111                          // 00000000593C: D267006D 0002DF6E
	v_mfma_f32_16x16x32_f16 v[36:39], v[240:243], a[16:19], v[36:39]// 000000005944: D3D40024 149221F0
	ds_read_b128 v[248:251], v17 offset:53248                  // 00000000594C: D9FED000 F8000011
	ds_read_b128 v[252:255], v17 offset:54272                  // 000000005954: D9FED400 FC000011
	v_mfma_f32_16x16x32_f16 v[36:39], v[244:247], a[20:23], v[36:39]// 00000000595C: D3D40024 149229F4
	v_mul_f32_e32 v114, s47, v114                              // 000000005964: 0AE4E42F
	v_mul_f32_e32 v115, s47, v115                              // 000000005968: 0AE6E62F
	v_mfma_f32_16x16x32_f16 v[40:43], v[224:227], a[24:27], 0  // 00000000596C: D3D40028 120231E0
	ds_read_b128 v[72:75], v12 offset:18432                    // 000000005974: D9FE4800 4800000C
	ds_read_b128 v[76:79], v12 offset:19456                    // 00000000597C: D9FE4C00 4C00000C
	v_mfma_f32_16x16x32_f16 v[40:43], v[228:231], a[28:31], v[40:43]// 000000005984: D3D40028 14A239E4
	v_mul_f32_e32 v116, s47, v116                              // 00000000598C: 0AE8E82F
	v_mul_f32_e32 v117, s47, v117                              // 000000005990: 0AEAEA2F
	v_mfma_f32_16x16x32_f16 v[40:43], v[232:235], a[32:35], v[40:43]// 000000005994: D3D40028 14A241E8
	ds_read_b128 v[80:83], v12 offset:20480                    // 00000000599C: D9FE5000 5000000C
	ds_read_b128 v[84:87], v12 offset:21504                    // 0000000059A4: D9FE5400 5400000C
	v_mfma_f32_16x16x32_f16 v[40:43], v[236:239], a[36:39], v[40:43]// 0000000059AC: D3D40028 14A249EC
	v_mul_f32_e32 v118, s47, v118                              // 0000000059B4: 0AECEC2F
	v_mul_f32_e32 v119, s47, v119                              // 0000000059B8: 0AEEEE2F
	v_cvt_pk_f16_f32 v110, v112, v113                          // 0000000059BC: D267006E 0002E370
	v_cvt_pk_f16_f32 v111, v114, v115                          // 0000000059C4: D267006F 0002E772
	s_waitcnt lgkmcnt(10)                                      // 0000000059CC: BF8CCA7F
	v_mfma_f32_16x16x32_f16 v[40:43], v[240:243], a[40:43], v[40:43]// 0000000059D0: D3D40028 14A251F0
	ds_read_b64_tr_b16 v[88:89], v13 offset:18432              // 0000000059D8: D9C64800 5800000D
	ds_read_b64_tr_b16 v[90:91], v13 offset:18688              // 0000000059E0: D9C64900 5A00000D
	v_mfma_f32_16x16x32_f16 v[40:43], v[244:247], a[44:47], v[40:43]// 0000000059E8: D3D40028 14A259F4
	v_fma_f32 v36, v36, s57, -v104                             // 0000000059F0: D1CB0024 85A07324
	v_fma_f32 v37, v37, s57, -v105                             // 0000000059F8: D1CB0025 85A47325
	s_waitcnt lgkmcnt(10)                                      // 000000005A00: BF8CCA7F
	v_mfma_f32_16x16x32_f16 v[44:47], v[224:227], a[48:51], 0  // 000000005A04: D3D4002C 120261E0
	ds_read_b64_tr_b16 v[92:93], v13 offset:19456              // 000000005A0C: D9C64C00 5C00000D
	ds_read_b64_tr_b16 v[94:95], v13 offset:19712              // 000000005A14: D9C64D00 5E00000D
	v_mfma_f32_16x16x32_f16 v[44:47], v[228:231], a[52:55], v[44:47]// 000000005A1C: D3D4002C 14B269E4
	v_fma_f32 v38, v38, s57, -v106                             // 000000005A24: D1CB0026 85A87326
	v_fma_f32 v39, v39, s57, -v107                             // 000000005A2C: D1CB0027 85AC7327
	s_waitcnt lgkmcnt(10)                                      // 000000005A34: BF8CCA7F
	v_mfma_f32_16x16x32_f16 v[44:47], v[232:235], a[56:59], v[44:47]// 000000005A38: D3D4002C 14B271E8
	ds_read_b64_tr_b16 v[96:97], v13 offset:20480              // 000000005A40: D9C65000 6000000D
	ds_read_b64_tr_b16 v[98:99], v13 offset:20736              // 000000005A48: D9C65100 6200000D
	v_mfma_f32_16x16x32_f16 v[44:47], v[236:239], a[60:63], v[44:47]// 000000005A50: D3D4002C 14B279EC
	v_fma_f32 v40, v40, s57, -v104                             // 000000005A58: D1CB0028 85A07328
	v_fma_f32 v41, v41, s57, -v105                             // 000000005A60: D1CB0029 85A47329
	v_cvt_pk_f16_f32 v112, v116, v117                          // 000000005A68: D2670070 0002EB74
	v_cvt_pk_f16_f32 v113, v118, v119                          // 000000005A70: D2670071 0002EF76
	s_waitcnt lgkmcnt(10)                                      // 000000005A78: BF8CCA7F
	v_mfma_f32_16x16x32_f16 v[44:47], v[240:243], v[248:251], v[44:47]// 000000005A7C: D3D4002C 04B3F1F0
	ds_read_b64_tr_b16 v[100:101], v13 offset:21504            // 000000005A84: D9C65400 6400000D
	ds_read_b64_tr_b16 v[102:103], v13 offset:21760            // 000000005A8C: D9C65500 6600000D
	v_mfma_f32_16x16x32_f16 v[44:47], v[244:247], v[252:255], v[44:47]// 000000005A94: D3D4002C 04B3F9F4
	v_fma_f32 v42, v42, s57, -v106                             // 000000005A9C: D1CB002A 85A8732A
	v_fma_f32 v43, v43, s57, -v107                             // 000000005AA4: D1CB002B 85AC732B
	s_cmp_lt_i32 s74, 12                                       // 000000005AAC: BF048C4A
	s_cbranch_scc0 label_0722                                  // 000000005AB0: BF840075
	s_mov_b32 s60, 0xffe0fffe                                  // 000000005AB4: BEBC00FF FFE0FFFE
	s_mov_b32 s61, 0xe000fe00                                  // 000000005ABC: BEBD00FF E000FE00
	s_nop 0                                                    // 000000005AC4: BF800000
	s_add_u32 s62, 0, s46                                      // 000000005AC8: 803E2E80
	s_cmp_lt_i32 s74, s62                                      // 000000005ACC: BF043E4A
	s_cbranch_scc1 label_06DD                                  // 000000005AD0: BF850028
	s_cmp_eq_i32 s74, s62                                      // 000000005AD4: BF003E4A
	s_cbranch_scc1 label_06C2                                  // 000000005AD8: BF85000B
	s_add_u32 s62, 4, s46                                      // 000000005ADC: 803E2E84
	s_cmp_lt_i32 s74, s62                                      // 000000005AE0: BF043E4A
	s_cbranch_scc1 label_06FD                                  // 000000005AE4: BF850043
	s_cmp_eq_i32 s74, s62                                      // 000000005AE8: BF003E4A
	s_cbranch_scc1 label_06E2                                  // 000000005AEC: BF850026
	s_add_u32 s62, 8, s46                                      // 000000005AF0: 803E2E88
	s_cmp_lt_i32 s74, s62                                      // 000000005AF4: BF043E4A
	s_cbranch_scc1 label_071D                                  // 000000005AF8: BF85005E
	s_cmp_eq_i32 s74, s62                                      // 000000005AFC: BF003E4A
	s_cbranch_scc1 label_0702                                  // 000000005B00: BF850041
	s_branch label_0722                                        // 000000005B04: BF820060

0000000000005b08 <label_06C2>:
	v_cndmask_b32_e64 v36, v36, v127, s[60:61]                 // 000000005B08: D1000024 00F2FF24
	s_lshl_b32 s60, s60, 1                                     // 000000005B10: 8E3C813C
	s_lshl_b32 s61, s61, 1                                     // 000000005B14: 8E3D813D
	s_and_b32 s60, 0xfffeffff, s60                             // 000000005B18: 863C3CFF FFFEFFFF
	s_and_b32 s61, 0xfffeffff, s61                             // 000000005B20: 863D3DFF FFFEFFFF
	v_cndmask_b32_e64 v37, v37, v127, s[60:61]                 // 000000005B28: D1000025 00F2FF25
	s_lshl_b32 s60, s60, 1                                     // 000000005B30: 8E3C813C
	s_lshl_b32 s61, s61, 1                                     // 000000005B34: 8E3D813D
	s_and_b32 s60, 0xfffeffff, s60                             // 000000005B38: 863C3CFF FFFEFFFF
	s_and_b32 s61, 0xfffeffff, s61                             // 000000005B40: 863D3DFF FFFEFFFF
	v_cndmask_b32_e64 v38, v38, v127, s[60:61]                 // 000000005B48: D1000026 00F2FF26
	s_lshl_b32 s60, s60, 1                                     // 000000005B50: 8E3C813C
	s_lshl_b32 s61, s61, 1                                     // 000000005B54: 8E3D813D
	s_and_b32 s60, 0xfffeffff, s60                             // 000000005B58: 863C3CFF FFFEFFFF
	s_and_b32 s61, 0xfffeffff, s61                             // 000000005B60: 863D3DFF FFFEFFFF
	v_cndmask_b32_e64 v39, v39, v127, s[60:61]                 // 000000005B68: D1000027 00F2FF27
	s_branch label_06FD                                        // 000000005B70: BF820020

0000000000005b74 <label_06DD>:
	v_mov_b32_e32 v36, v127                                    // 000000005B74: 7E48037F
	v_mov_b32_e32 v37, v127                                    // 000000005B78: 7E4A037F
	v_mov_b32_e32 v38, v127                                    // 000000005B7C: 7E4C037F
	v_mov_b32_e32 v39, v127                                    // 000000005B80: 7E4E037F
	s_branch label_06FD                                        // 000000005B84: BF82001B

0000000000005b88 <label_06E2>:
	v_cndmask_b32_e64 v40, v40, v127, s[60:61]                 // 000000005B88: D1000028 00F2FF28
	s_lshl_b32 s60, s60, 1                                     // 000000005B90: 8E3C813C
	s_lshl_b32 s61, s61, 1                                     // 000000005B94: 8E3D813D
	s_and_b32 s60, 0xfffeffff, s60                             // 000000005B98: 863C3CFF FFFEFFFF
	s_and_b32 s61, 0xfffeffff, s61                             // 000000005BA0: 863D3DFF FFFEFFFF
	v_cndmask_b32_e64 v41, v41, v127, s[60:61]                 // 000000005BA8: D1000029 00F2FF29
	s_lshl_b32 s60, s60, 1                                     // 000000005BB0: 8E3C813C
	s_lshl_b32 s61, s61, 1                                     // 000000005BB4: 8E3D813D
	s_and_b32 s60, 0xfffeffff, s60                             // 000000005BB8: 863C3CFF FFFEFFFF
	s_and_b32 s61, 0xfffeffff, s61                             // 000000005BC0: 863D3DFF FFFEFFFF
	v_cndmask_b32_e64 v42, v42, v127, s[60:61]                 // 000000005BC8: D100002A 00F2FF2A
	s_lshl_b32 s60, s60, 1                                     // 000000005BD0: 8E3C813C
	s_lshl_b32 s61, s61, 1                                     // 000000005BD4: 8E3D813D
	s_and_b32 s60, 0xfffeffff, s60                             // 000000005BD8: 863C3CFF FFFEFFFF
	s_and_b32 s61, 0xfffeffff, s61                             // 000000005BE0: 863D3DFF FFFEFFFF
	v_cndmask_b32_e64 v43, v43, v127, s[60:61]                 // 000000005BE8: D100002B 00F2FF2B
	s_branch label_071D                                        // 000000005BF0: BF820020

0000000000005bf4 <label_06FD>:
	v_mov_b32_e32 v40, v127                                    // 000000005BF4: 7E50037F
	v_mov_b32_e32 v41, v127                                    // 000000005BF8: 7E52037F
	v_mov_b32_e32 v42, v127                                    // 000000005BFC: 7E54037F
	v_mov_b32_e32 v43, v127                                    // 000000005C00: 7E56037F
	s_branch label_071D                                        // 000000005C04: BF82001B

0000000000005c08 <label_0702>:
	v_cndmask_b32_e64 v44, v44, v127, s[60:61]                 // 000000005C08: D100002C 00F2FF2C
	s_lshl_b32 s60, s60, 1                                     // 000000005C10: 8E3C813C
	s_lshl_b32 s61, s61, 1                                     // 000000005C14: 8E3D813D
	s_and_b32 s60, 0xfffeffff, s60                             // 000000005C18: 863C3CFF FFFEFFFF
	s_and_b32 s61, 0xfffeffff, s61                             // 000000005C20: 863D3DFF FFFEFFFF
	v_cndmask_b32_e64 v45, v45, v127, s[60:61]                 // 000000005C28: D100002D 00F2FF2D
	s_lshl_b32 s60, s60, 1                                     // 000000005C30: 8E3C813C
	s_lshl_b32 s61, s61, 1                                     // 000000005C34: 8E3D813D
	s_and_b32 s60, 0xfffeffff, s60                             // 000000005C38: 863C3CFF FFFEFFFF
	s_and_b32 s61, 0xfffeffff, s61                             // 000000005C40: 863D3DFF FFFEFFFF
	v_cndmask_b32_e64 v46, v46, v127, s[60:61]                 // 000000005C48: D100002E 00F2FF2E
	s_lshl_b32 s60, s60, 1                                     // 000000005C50: 8E3C813C
	s_lshl_b32 s61, s61, 1                                     // 000000005C54: 8E3D813D
	s_and_b32 s60, 0xfffeffff, s60                             // 000000005C58: 863C3CFF FFFEFFFF
	s_and_b32 s61, 0xfffeffff, s61                             // 000000005C60: 863D3DFF FFFEFFFF
	v_cndmask_b32_e64 v47, v47, v127, s[60:61]                 // 000000005C68: D100002F 00F2FF2F
	s_branch label_0722                                        // 000000005C70: BF820005

0000000000005c74 <label_071D>:
	v_mov_b32_e32 v44, v127                                    // 000000005C74: 7E58037F
	v_mov_b32_e32 v45, v127                                    // 000000005C78: 7E5A037F
	v_mov_b32_e32 v46, v127                                    // 000000005C7C: 7E5C037F
	v_mov_b32_e32 v47, v127                                    // 000000005C80: 7E5E037F
	s_branch label_0722                                        // 000000005C84: BF820000

0000000000005c88 <label_0722>:
	s_cmp_lt_i32 s64, 0xc0                                     // 000000005C88: BF04FF40 000000C0
	s_cbranch_scc0 label_0777                                  // 000000005C90: BF84004D
	s_cmp_le_i32 s64, 64                                       // 000000005C94: BF05C040
	s_cbranch_scc1 label_072E                                  // 000000005C98: BF850007
	s_cmp_le_i32 s64, 0x80                                     // 000000005C9C: BF05FF40 00000080
	s_cbranch_scc1 label_0746                                  // 000000005CA4: BF850017
	s_cmp_lt_i32 s64, 0xc0                                     // 000000005CA8: BF04FF40 000000C0
	s_cbranch_scc1 label_075E                                  // 000000005CB0: BF85002C
	s_branch label_0777                                        // 000000005CB4: BF820044

0000000000005cb8 <label_072E>:
	s_mov_b32 s60, 0                                           // 000000005CB8: BEBC0080
	v_and_b32_e32 v32, 15, v0                                  // 000000005CBC: 2640008F
	v_add_u32_e64 v32, v32, s60                                // 000000005CC0: D1340020 00007920
	v_mul_i32_i24_e64 v33, s46, 16                             // 000000005CC8: D1060021 0001202E
	v_add_u32_e32 v32, v32, v33                                // 000000005CD0: 68404320
	v_cmp_lt_u32_e64 s[60:61], v32, s64                        // 000000005CD4: D0C9003C 00008120
	s_nop 1                                                    // 000000005CDC: BF800001
	v_cndmask_b32_e64 v36, v127, v36, s[60:61]                 // 000000005CE0: D1000024 00F2497F
	v_cndmask_b32_e64 v37, v127, v37, s[60:61]                 // 000000005CE8: D1000025 00F24B7F
	v_cndmask_b32_e64 v38, v127, v38, s[60:61]                 // 000000005CF0: D1000026 00F24D7F
	v_cndmask_b32_e64 v39, v127, v39, s[60:61]                 // 000000005CF8: D1000027 00F24F7F
	s_branch label_0759                                        // 000000005D00: BF820013

0000000000005d04 <label_0746>:
	s_mov_b32 s60, 64                                          // 000000005D04: BEBC00C0
	v_and_b32_e32 v32, 15, v0                                  // 000000005D08: 2640008F
	v_add_u32_e64 v32, v32, s60                                // 000000005D0C: D1340020 00007920
	v_mul_i32_i24_e64 v33, s46, 16                             // 000000005D14: D1060021 0001202E
	v_add_u32_e32 v32, v32, v33                                // 000000005D1C: 68404320
	v_cmp_lt_u32_e64 s[60:61], v32, s64                        // 000000005D20: D0C9003C 00008120
	s_nop 1                                                    // 000000005D28: BF800001
	v_cndmask_b32_e64 v40, v127, v40, s[60:61]                 // 000000005D2C: D1000028 00F2517F
	v_cndmask_b32_e64 v41, v127, v41, s[60:61]                 // 000000005D34: D1000029 00F2537F
	v_cndmask_b32_e64 v42, v127, v42, s[60:61]                 // 000000005D3C: D100002A 00F2557F
	v_cndmask_b32_e64 v43, v127, v43, s[60:61]                 // 000000005D44: D100002B 00F2577F
	s_branch label_0772                                        // 000000005D4C: BF820019

0000000000005d50 <label_0759>:
	v_mov_b32_e32 v40, v127                                    // 000000005D50: 7E50037F
	v_mov_b32_e32 v41, v127                                    // 000000005D54: 7E52037F
	v_mov_b32_e32 v42, v127                                    // 000000005D58: 7E54037F
	v_mov_b32_e32 v43, v127                                    // 000000005D5C: 7E56037F
	s_branch label_0772                                        // 000000005D60: BF820014

0000000000005d64 <label_075E>:
	s_mov_b32 s60, 0x80                                        // 000000005D64: BEBC00FF 00000080
	v_and_b32_e32 v32, 15, v0                                  // 000000005D6C: 2640008F
	v_add_u32_e64 v32, v32, s60                                // 000000005D70: D1340020 00007920
	v_mul_i32_i24_e64 v33, s46, 16                             // 000000005D78: D1060021 0001202E
	v_add_u32_e32 v32, v32, v33                                // 000000005D80: 68404320
	v_cmp_lt_u32_e64 s[60:61], v32, s64                        // 000000005D84: D0C9003C 00008120
	s_nop 1                                                    // 000000005D8C: BF800001
	v_cndmask_b32_e64 v44, v127, v44, s[60:61]                 // 000000005D90: D100002C 00F2597F
	v_cndmask_b32_e64 v45, v127, v45, s[60:61]                 // 000000005D98: D100002D 00F25B7F
	v_cndmask_b32_e64 v46, v127, v46, s[60:61]                 // 000000005DA0: D100002E 00F25D7F
	v_cndmask_b32_e64 v47, v127, v47, s[60:61]                 // 000000005DA8: D100002F 00F25F7F
	s_branch label_0777                                        // 000000005DB0: BF820005

0000000000005db4 <label_0772>:
	v_mov_b32_e32 v44, v127                                    // 000000005DB4: 7E58037F
	v_mov_b32_e32 v45, v127                                    // 000000005DB8: 7E5A037F
	v_mov_b32_e32 v46, v127                                    // 000000005DBC: 7E5C037F
	v_mov_b32_e32 v47, v127                                    // 000000005DC0: 7E5E037F
	s_branch label_0777                                        // 000000005DC4: BF820000

0000000000005dc8 <label_0777>:
	s_addk_i32 s74, 0x1                                        // 000000005DC8: B74A0001
	s_waitcnt lgkmcnt(8)                                       // 000000005DCC: BF8CC87F
	v_mfma_f32_16x16x32_f16 v[60:63], v[72:75], a[64:67], 0    // 000000005DD0: D3D4003C 12028148
	v_exp_f32_e32 v36, v36                                     // 000000005DD8: 7E484124
	v_exp_f32_e32 v37, v37                                     // 000000005DDC: 7E4A4125
	v_mfma_f32_16x16x32_f16 v[60:63], v[76:79], a[68:71], v[60:63]// 000000005DE0: D3D4003C 14F2894C
	v_exp_f32_e32 v38, v38                                     // 000000005DE8: 7E4C4126
	v_exp_f32_e32 v39, v39                                     // 000000005DEC: 7E4E4127
	v_mfma_f32_16x16x32_f16 v[60:63], v[80:83], a[72:75], v[60:63]// 000000005DF0: D3D4003C 14F29150
	ds_read_b64_tr_b16 v[224:225], v13                         // 000000005DF8: D9C60000 E000000D
	ds_read_b64_tr_b16 v[226:227], v13 offset:256              // 000000005E00: D9C60100 E200000D
	ds_read_b64_tr_b16 v[228:229], v13 offset:1024             // 000000005E08: D9C60400 E400000D
	ds_read_b64_tr_b16 v[230:231], v13 offset:1280             // 000000005E10: D9C60500 E600000D
	v_mfma_f32_16x16x32_f16 v[60:63], v[84:87], a[76:79], v[60:63]// 000000005E18: D3D4003C 14F29954
	v_fma_f32 v44, v44, s57, -v104                             // 000000005E20: D1CB002C 85A0732C
	v_fma_f32 v45, v45, s57, -v105                             // 000000005E28: D1CB002D 85A4732D
	v_exp_f32_e32 v40, v40                                     // 000000005E30: 7E504128
	v_exp_f32_e32 v41, v41                                     // 000000005E34: 7E524129
	buffer_atomic_pk_add_f16 v108, v7, s[32:35], 0 offen       // 000000005E38: E1381000 80086C07
	v_mfma_f32_16x16x32_f16 v[64:67], v[72:75], a[80:83], 0    // 000000005E40: D3D40040 1202A148
	ds_read_b64_tr_b16 v[232:233], v13 offset:2048             // 000000005E48: D9C60800 E800000D
	ds_read_b64_tr_b16 v[234:235], v13 offset:2304             // 000000005E50: D9C60900 EA00000D
	ds_read_b64_tr_b16 v[236:237], v13 offset:3072             // 000000005E58: D9C60C00 EC00000D
	ds_read_b64_tr_b16 v[238:239], v13 offset:3328             // 000000005E60: D9C60D00 EE00000D
	v_mfma_f32_16x16x32_f16 v[64:67], v[76:79], a[84:87], v[64:67]// 000000005E68: D3D40040 1502A94C
	v_fma_f32 v46, v46, s57, -v106                             // 000000005E70: D1CB002E 85A8732E
	v_fma_f32 v47, v47, s57, -v107                             // 000000005E78: D1CB002F 85AC732F
	v_exp_f32_e32 v42, v42                                     // 000000005E80: 7E54412A
	v_exp_f32_e32 v43, v43                                     // 000000005E84: 7E56412B
	v_mfma_f32_16x16x32_f16 v[64:67], v[80:83], a[88:91], v[64:67]// 000000005E88: D3D40040 1502B150
	v_exp_f32_e32 v44, v44                                     // 000000005E90: 7E58412C
	v_exp_f32_e32 v45, v45                                     // 000000005E94: 7E5A412D
	v_mfma_f32_16x16x32_f16 v[64:67], v[84:87], a[92:95], v[64:67]// 000000005E98: D3D40040 1502B954
	v_cvt_pk_f16_f32 v120, v36, v37                            // 000000005EA0: D2670078 00024B24
	v_cvt_pk_f16_f32 v121, v38, v39                            // 000000005EA8: D2670079 00024F26
	v_cvt_pk_f16_f32 v122, v40, v41                            // 000000005EB0: D267007A 00025328
	v_cvt_pk_f16_f32 v123, v42, v43                            // 000000005EB8: D267007B 0002572A
	v_mfma_f32_16x16x32_f16 v[68:71], v[72:75], a[96:99], 0    // 000000005EC0: D3D40044 1202C148
	v_exp_f32_e32 v46, v46                                     // 000000005EC8: 7E5C412E
	v_exp_f32_e32 v47, v47                                     // 000000005ECC: 7E5E412F
	v_mfma_f32_16x16x32_f16 v[68:71], v[76:79], a[100:103], v[68:71]// 000000005ED0: D3D40044 1512C94C
	v_permlane16_swap_b32_e32 v120, v122                       // 000000005ED8: 7EF0B37A
	v_permlane16_swap_b32_e32 v121, v123                       // 000000005EDC: 7EF2B37B
	v_mfma_f32_16x16x32_f16 v[68:71], v[80:83], a[104:107], v[68:71]// 000000005EE0: D3D40044 1512D150
	ds_read_b64_tr_b16 v[240:241], v13 offset:4096             // 000000005EE8: D9C61000 F000000D
	ds_read_b64_tr_b16 v[242:243], v13 offset:4352             // 000000005EF0: D9C61100 F200000D
	ds_read_b64_tr_b16 v[244:245], v13 offset:5120             // 000000005EF8: D9C61400 F400000D
	ds_read_b64_tr_b16 v[246:247], v13 offset:5376             // 000000005F00: D9C61500 F600000D
	v_mfma_f32_16x16x32_f16 v[68:71], v[84:87], a[108:111], v[68:71]// 000000005F08: D3D40044 1512D954
	v_cvt_pk_f16_f32 v124, v44, v45                            // 000000005F10: D267007C 00025B2C
	v_cvt_pk_f16_f32 v125, v46, v47                            // 000000005F18: D267007D 00025F2E
	buffer_atomic_pk_add_f16 v109, v7, s[32:35], 0 offen offset:768// 000000005F20: E1381300 80086D07
	s_waitcnt lgkmcnt(12)                                      // 000000005F28: BF8CCC7F
	v_mfma_f32_32x32x16_f16 v[128:143], v[88:91], v[120:123], v[128:143]// 000000005F2C: D3D50080 0602F158
	ds_read_b64_tr_b16 a[0:1], v19                             // 000000005F34: DBC60000 00000013
	ds_read_b64_tr_b16 a[2:3], v19 offset:256                  // 000000005F3C: DBC60100 02000013
	ds_read_b64_tr_b16 a[4:5], v19 offset:12288                // 000000005F44: DBC63000 04000013
	ds_read_b64_tr_b16 a[6:7], v19 offset:12544                // 000000005F4C: DBC63100 06000013
	ds_read_b64_tr_b16 a[8:9], v19 offset:24576                // 000000005F54: DBC66000 08000013
	buffer_atomic_pk_add_f16 v110, v8, s[32:35], 0 offen       // 000000005F5C: E1381000 80086E08
	v_mfma_f32_32x32x16_f16 v[144:159], v[92:95], v[120:123], v[144:159]// 000000005F64: D3D50090 0642F15C
	v_subrev_f32_dpp v60, v126, v60 quad_perm:[0,0,0,0] row_mask:0xf bank_mask:0xf// 000000005F6C: 067878FA FF00007E
	v_subrev_f32_dpp v61, v126, v61 quad_perm:[1,1,1,1] row_mask:0xf bank_mask:0xf// 000000005F74: 067A7AFA FF00557E
	v_subrev_f32_dpp v62, v126, v62 quad_perm:[2,2,2,2] row_mask:0xf bank_mask:0xf// 000000005F7C: 067C7CFA FF00AA7E
	v_subrev_f32_dpp v63, v126, v63 quad_perm:[3,3,3,3] row_mask:0xf bank_mask:0xf// 000000005F84: 067E7EFA FF00FF7E
	v_subrev_f32_dpp v64, v126, v64 quad_perm:[0,0,0,0] row_mask:0xf bank_mask:0xf// 000000005F8C: 068080FA FF00007E
	v_subrev_f32_dpp v65, v126, v65 quad_perm:[1,1,1,1] row_mask:0xf bank_mask:0xf// 000000005F94: 068282FA FF00557E
	v_subrev_f32_dpp v66, v126, v66 quad_perm:[2,2,2,2] row_mask:0xf bank_mask:0xf// 000000005F9C: 068484FA FF00AA7E
	v_subrev_f32_dpp v67, v126, v67 quad_perm:[3,3,3,3] row_mask:0xf bank_mask:0xf// 000000005FA4: 068686FA FF00FF7E
	v_mul_f32_e32 v60, v36, v60                                // 000000005FAC: 0A787924
	v_mul_f32_e32 v61, v37, v61                                // 000000005FB0: 0A7A7B25
	v_mul_f32_e32 v62, v38, v62                                // 000000005FB4: 0A7C7D26
	v_mul_f32_e32 v63, v39, v63                                // 000000005FB8: 0A7E7F27
	v_mfma_f32_32x32x16_f16 v[160:175], v[96:99], v[120:123], v[160:175]// 000000005FBC: D3D500A0 0682F160
	ds_read_b64_tr_b16 a[10:11], v19 offset:24832              // 000000005FC4: DBC66100 0A000013
	ds_read_b64_tr_b16 a[12:13], v19 offset:36864              // 000000005FCC: DBC69000 0C000013
	ds_read_b64_tr_b16 a[14:15], v19 offset:37120              // 000000005FD4: DBC69100 0E000013
	ds_read_b64_tr_b16 a[16:17], v19 offset:49152              // 000000005FDC: DBC6C000 10000013
	ds_read_b64_tr_b16 a[18:19], v19 offset:49408              // 000000005FE4: DBC6C100 12000013
	ds_read_b32 v104, v16 offset:38144                         // 000000005FEC: D86C9500 68000010
	v_mfma_f32_32x32x16_f16 v[176:191], v[100:103], v[120:123], v[176:191]// 000000005FF4: D3D500B0 06C2F164
	v_mul_f32_e32 v64, v40, v64                                // 000000005FFC: 0A808128
	v_mul_f32_e32 v65, v41, v65                                // 000000006000: 0A828329
	v_mul_f32_e32 v66, v42, v66                                // 000000006004: 0A84852A
	v_mul_f32_e32 v67, v43, v67                                // 000000006008: 0A86872B
	v_permlane16_swap_b32_e32 v88, v90                         // 00000000600C: 7EB0B35A
	v_permlane16_swap_b32_e32 v89, v91                         // 000000006010: 7EB2B35B
	v_cvt_pk_f16_f32 v60, v60, v61                             // 000000006014: D267003C 00027B3C
	v_cvt_pk_f16_f32 v61, v62, v63                             // 00000000601C: D267003D 00027F3E
	v_cvt_pk_f16_f32 v62, v64, v65                             // 000000006024: D267003E 00028340
	v_cvt_pk_f16_f32 v63, v66, v67                             // 00000000602C: D267003F 00028742
	v_permlane16_swap_b32_e32 v92, v94                         // 000000006034: 7EB8B35E
	v_permlane16_swap_b32_e32 v93, v95                         // 000000006038: 7EBAB35F
	v_mfma_f32_16x16x16_f16 v[192:195], v[88:89], v[124:125], v[192:195]// 00000000603C: D3CD00C0 0702F958
	buffer_atomic_pk_add_f16 v111, v8, s[32:35], 0 offen offset:768// 000000006044: E1381300 80086F08
	ds_write_b64 v15, v[60:61] offset:30720                    // 00000000604C: D89A7800 00003C0F
	ds_write_b64 v15, v[62:63] offset:33024                    // 000000006054: D89A8100 00003E0F
	v_mfma_f32_16x16x16_f16 v[196:199], v[90:91], v[124:125], v[196:199]// 00000000605C: D3CD00C4 0712F95A
	v_permlane16_swap_b32_e32 v96, v98                         // 000000006064: 7EC0B362
	v_permlane16_swap_b32_e32 v97, v99                         // 000000006068: 7EC2B363
	v_subrev_f32_dpp v68, v126, v68 quad_perm:[0,0,0,0] row_mask:0xf bank_mask:0xf// 00000000606C: 068888FA FF00007E
	v_subrev_f32_dpp v69, v126, v69 quad_perm:[1,1,1,1] row_mask:0xf bank_mask:0xf// 000000006074: 068A8AFA FF00557E
	v_mfma_f32_16x16x16_f16 v[200:203], v[92:93], v[124:125], v[200:203]// 00000000607C: D3CD00C8 0722F95C
	v_permlane16_swap_b32_e32 v100, v102                       // 000000006084: 7EC8B366
	v_permlane16_swap_b32_e32 v101, v103                       // 000000006088: 7ECAB367
	v_subrev_f32_dpp v70, v126, v70 quad_perm:[2,2,2,2] row_mask:0xf bank_mask:0xf// 00000000608C: 068C8CFA FF00AA7E
	v_subrev_f32_dpp v71, v126, v71 quad_perm:[3,3,3,3] row_mask:0xf bank_mask:0xf// 000000006094: 068E8EFA FF00FF7E
	v_mfma_f32_16x16x16_f16 v[204:207], v[94:95], v[124:125], v[204:207]// 00000000609C: D3CD00CC 0732F95E
	v_permlane16_swap_b32_e32 v60, v62                         // 0000000060A4: 7E78B33E
	v_permlane16_swap_b32_e32 v61, v63                         // 0000000060A8: 7E7AB33F
	v_mfma_f32_16x16x16_f16 v[208:211], v[96:97], v[124:125], v[208:211]// 0000000060AC: D3CD00D0 0742F960
	ds_read_b64_tr_b16 a[20:21], v19 offset:61440              // 0000000060B4: DBC6F000 14000013
	ds_read_b64_tr_b16 a[22:23], v19 offset:61696              // 0000000060BC: DBC6F100 16000013
	ds_read_b64_tr_b16 a[24:25], v20                           // 0000000060C4: DBC60000 18000014
	v_mfma_f32_16x16x16_f16 v[212:215], v[98:99], v[124:125], v[212:215]// 0000000060CC: D3CD00D4 0752F962
	v_mul_f32_e32 v68, v44, v68                                // 0000000060D4: 0A88892C
	v_mul_f32_e32 v69, v45, v69                                // 0000000060D8: 0A8A8B2D
	v_mul_f32_e32 v70, v46, v70                                // 0000000060DC: 0A8C8D2E
	v_mfma_f32_16x16x16_f16 v[216:219], v[100:101], v[124:125], v[216:219]// 0000000060E0: D3CD00D8 0762F964
	ds_read_b32 v126, v16 offset:38400                         // 0000000060E8: D86C9600 7E000010
	ds_read_b64_tr_b16 a[26:27], v20 offset:256                // 0000000060F0: DBC60100 1A000014
	ds_read_b64_tr_b16 a[28:29], v20 offset:12288              // 0000000060F8: DBC63000 1C000014
	v_mfma_f32_16x16x16_f16 v[220:223], v[102:103], v[124:125], v[220:223]// 000000006100: D3CD00DC 0772F966
	v_mul_f32_e32 v71, v47, v71                                // 000000006108: 0A8E8F2F
	v_cvt_pk_f16_f32 v64, v68, v69                             // 00000000610C: D2670040 00028B44
	v_cvt_pk_f16_f32 v65, v70, v71                             // 000000006114: D2670041 00028F46
	s_waitcnt lgkmcnt(8)                                       // 00000000611C: BF8CC87F
	v_mfma_f32_32x32x16_f16 a[112:127], v[224:227], v[60:63], a[112:127]// 000000006120: D3D58070 05C279E0
	ds_read_b64_tr_b16 a[30:31], v20 offset:12544              // 000000006128: DBC63100 1E000014
	ds_write_b64 v15, v[64:65] offset:35328                    // 000000006130: D89A8A00 0000400F
	ds_read_b64_tr_b16 a[32:33], v20 offset:24576              // 000000006138: DBC66000 20000014
	ds_read_b64_tr_b16 a[34:35], v20 offset:24832              // 000000006140: DBC66100 22000014
	v_mfma_f32_32x32x16_f16 a[128:143], v[228:231], v[60:63], a[128:143]// 000000006148: D3D58080 060279E4
	v_mul_f32_e32 v104, s48, v104                              // 000000006150: 0AD0D030
	buffer_atomic_pk_add_f16 v112, v9, s[32:35], 0 offen       // 000000006154: E1381000 80087009
	v_mfma_f32_32x32x16_f16 a[144:159], v[232:235], v[60:63], a[144:159]// 00000000615C: D3D58090 064279E8
	ds_read_b64_tr_b16 a[36:37], v20 offset:36864              // 000000006164: DBC69000 24000014
	ds_read_b64_tr_b16 a[38:39], v20 offset:37120              // 00000000616C: DBC69100 26000014
	ds_read_b64_tr_b16 a[40:41], v20 offset:49152              // 000000006174: DBC6C000 28000014
	ds_read_b64_tr_b16 a[42:43], v20 offset:49408              // 00000000617C: DBC6C100 2A000014
	ds_read_b64_tr_b16 a[44:45], v20 offset:61440              // 000000006184: DBC6F000 2C000014
	ds_read_b64_tr_b16 a[46:47], v20 offset:61696              // 00000000618C: DBC6F100 2E000014
	v_mfma_f32_32x32x16_f16 a[160:175], v[236:239], v[60:63], a[160:175]// 000000006194: D3D580A0 068279EC
	.long 0x7fc0b3e2                                           // 00000000619C: 7FC0B3E2
	.long 0x7fc2b3e3                                           // 0000000061A0: 7FC2B3E3
	s_waitcnt lgkmcnt(8)                                       // 0000000061A4: BF8CC87F
	s_barrier                                                  // 0000000061A8: BF8A0000
	v_mfma_f32_32x32x16_f16 a[176:191], v[240:243], v[60:63], a[176:191]// 0000000061AC: D3D580B0 06C279F0
	ds_read_b64_tr_b16 v[36:37], v14 offset:30720              // 0000000061B4: D9C67800 2400000E
	ds_read_b64_tr_b16 v[38:39], v14 offset:30752              // 0000000061BC: D9C67820 2600000E
	ds_read_b64_tr_b16 v[40:41], v14 offset:31872              // 0000000061C4: D9C67C80 2800000E
	ds_read_b64_tr_b16 v[42:43], v14 offset:31904              // 0000000061CC: D9C67CA0 2A00000E
	ds_read_b64_tr_b16 v[44:45], v14 offset:33024              // 0000000061D4: D9C68100 2C00000E
	ds_read_b64_tr_b16 v[46:47], v14 offset:33056              // 0000000061DC: D9C68120 2E00000E
	v_mfma_f32_32x32x16_f16 a[192:207], v[244:247], v[60:63], a[192:207]// 0000000061E4: D3D580C0 070279F4
	.long 0x7fc8b3e6                                           // 0000000061EC: 7FC8B3E6
	.long 0x7fcab3e7                                           // 0000000061F0: 7FCAB3E7
	v_mov_b32_dpp v107, v104 quad_perm:[3,3,3,3] row_mask:0xf bank_mask:0xf// 0000000061F4: 7ED602FA FF00FF68
	v_mov_b32_dpp v106, v104 quad_perm:[2,2,2,2] row_mask:0xf bank_mask:0xf// 0000000061FC: 7ED402FA FF00AA68
	v_mfma_f32_16x16x16_f16 a[208:211], v[224:225], v[64:65], a[208:211]// 000000006204: D3CD80D0 074281E0
	ds_read_b64_tr_b16 v[48:49], v14 offset:34176              // 00000000620C: D9C68580 3000000E
	ds_read_b64_tr_b16 v[50:51], v14 offset:34208              // 000000006214: D9C685A0 3200000E
	ds_read_b64_tr_b16 v[52:53], v14 offset:35328              // 00000000621C: D9C68A00 3400000E
	v_mfma_f32_16x16x16_f16 a[212:215], v[226:227], v[64:65], a[212:215]// 000000006224: D3CD80D4 075281E2
	.long 0x7fd0b3ea                                           // 00000000622C: 7FD0B3EA
	.long 0x7fd2b3eb                                           // 000000006230: 7FD2B3EB
	v_mfma_f32_16x16x16_f16 a[216:219], v[228:229], v[64:65], a[216:219]// 000000006234: D3CD80D8 076281E4
	ds_read_b64_tr_b16 v[54:55], v14 offset:35360              // 00000000623C: D9C68A20 3600000E
	ds_read_b64_tr_b16 v[56:57], v14 offset:36480              // 000000006244: D9C68E80 3800000E
	ds_read_b64_tr_b16 v[58:59], v14 offset:36512              // 00000000624C: D9C68EA0 3A00000E
	v_mfma_f32_16x16x16_f16 a[220:223], v[230:231], v[64:65], a[220:223]// 000000006254: D3CD80DC 077281E6
	v_permlane16_swap_b32_e32 v236, v238                       // 00000000625C: 7FD8B3EE
	v_permlane16_swap_b32_e32 v237, v239                       // 000000006260: 7FDAB3EF
	v_mfma_f32_16x16x16_f16 a[224:227], v[232:233], v[64:65], a[224:227]// 000000006264: D3CD80E0 078281E8
	ds_read_b64_tr_b16 a[48:49], v21                           // 00000000626C: DBC60000 30000015
	ds_read_b64_tr_b16 a[50:51], v21 offset:256                // 000000006274: DBC60100 32000015
	ds_read_b64_tr_b16 a[52:53], v21 offset:12288              // 00000000627C: DBC63000 34000015
	v_mfma_f32_16x16x16_f16 a[228:231], v[234:235], v[64:65], a[228:231]// 000000006284: D3CD80E4 079281EA
	v_permlane16_swap_b32_e32 v240, v242                       // 00000000628C: 7FE0B3F2
	v_permlane16_swap_b32_e32 v241, v243                       // 000000006290: 7FE2B3F3
	v_mfma_f32_16x16x16_f16 a[232:235], v[236:237], v[64:65], a[232:235]// 000000006294: D3CD80E8 07A281EC
	ds_read_b64_tr_b16 a[54:55], v21 offset:12544              // 00000000629C: DBC63100 36000015
	ds_read_b64_tr_b16 a[56:57], v21 offset:24576              // 0000000062A4: DBC66000 38000015
	ds_read_b64_tr_b16 a[58:59], v21 offset:24832              // 0000000062AC: DBC66100 3A000015
	v_mfma_f32_16x16x16_f16 a[236:239], v[238:239], v[64:65], a[236:239]// 0000000062B4: D3CD80EC 07B281EE
	v_permlane16_swap_b32_e32 v244, v246                       // 0000000062BC: 7FE8B3F6
	v_permlane16_swap_b32_e32 v245, v247                       // 0000000062C0: 7FEAB3F7
	v_mfma_f32_16x16x16_f16 a[240:243], v[240:241], v[64:65], a[240:243]// 0000000062C4: D3CD80F0 07C281F0
	ds_read_b64_tr_b16 a[60:61], v21 offset:36864              // 0000000062CC: DBC69000 3C000015
	ds_read_b64_tr_b16 a[62:63], v21 offset:37120              // 0000000062D4: DBC69100 3E000015
	ds_read_b64_tr_b16 v[248:249], v21 offset:49152            // 0000000062DC: D9C6C000 F8000015
	v_mfma_f32_16x16x16_f16 a[244:247], v[242:243], v[64:65], a[244:247]// 0000000062E4: D3CD80F4 07D281F2
	v_mov_b32_dpp v105, v104 quad_perm:[1,1,1,1] row_mask:0xf bank_mask:0xf// 0000000062EC: 7ED202FA FF005568
	buffer_atomic_pk_add_f16 v113, v9, s[32:35], 0 offen offset:768// 0000000062F4: E1381300 80087109
	v_mfma_f32_16x16x16_f16 a[248:251], v[244:245], v[64:65], a[248:251]// 0000000062FC: D3CD80F8 07E281F4
	ds_read_b64_tr_b16 v[250:251], v21 offset:49408            // 000000006304: D9C6C100 FA000015
	ds_read_b64_tr_b16 v[252:253], v21 offset:61440            // 00000000630C: D9C6F000 FC000015
	ds_read_b64_tr_b16 v[254:255], v21 offset:61696            // 000000006314: D9C6F100 FE000015
	v_mfma_f32_16x16x16_f16 a[252:255], v[246:247], v[64:65], a[252:255]// 00000000631C: D3CD80FC 07F281F6
	v_mov_b32_dpp v104, v104 quad_perm:[0,0,0,0] row_mask:0xf bank_mask:0xf// 000000006324: 7ED002FA FF000068
	s_waitcnt vmcnt(6) lgkmcnt(6)                              // 00000000632C: BF8C0676
	s_barrier                                                  // 000000006330: BF8A0000
	v_mfma_f32_16x16x32_f16 v[108:111], a[0:3], v[36:39], 0    // 000000006334: D3D4006C 0A024900
	ds_read_b128 v[224:227], v12 offset:6144                   // 00000000633C: D9FE1800 E000000C
	ds_read_b128 v[228:231], v12 offset:7168                   // 000000006344: D9FE1C00 E400000C
	v_mfma_f32_16x16x32_f16 v[108:111], a[4:7], v[40:43], v[108:111]// 00000000634C: D3D4006C 0DB25104
	s_mov_b32 m0, s81                                          // 000000006354: BEFC0051
	buffer_load_dwordx4 v1, s[8:11], 0 idxen lds               // 000000006358: E05D2000 80020001
	v_mfma_f32_16x16x32_f16 v[108:111], a[8:11], v[44:47], v[108:111]// 000000006360: D3D4006C 0DB25908
	ds_read_b128 v[232:235], v12 offset:8192                   // 000000006368: D9FE2000 E800000C
	ds_read_b128 v[236:239], v12 offset:9216                   // 000000006370: D9FE2400 EC00000C
	v_mfma_f32_16x16x32_f16 v[108:111], a[12:15], v[48:51], v[108:111]// 000000006378: D3D4006C 0DB2610C
	s_mov_b32 m0, s82                                          // 000000006380: BEFC0052
	buffer_load_dword v2, s[8:11], 0 idxen lds                 // 000000006384: E0512000 80020002
	v_mfma_f32_16x16x32_f16 v[108:111], a[16:19], v[52:55], v[108:111]// 00000000638C: D3D4006C 0DB26910
	ds_read_b128 v[240:243], v12 offset:10240                  // 000000006394: D9FE2800 F000000C
	ds_read_b128 v[244:247], v12 offset:11264                  // 00000000639C: D9FE2C00 F400000C
	v_mfma_f32_16x16x32_f16 v[108:111], a[20:23], v[56:59], v[108:111]// 0000000063A4: D3D4006C 0DB27114
	s_mov_b32 m0, s83                                          // 0000000063AC: BEFC0053
	buffer_load_dword v3, s[8:11], 0 idxen lds                 // 0000000063B0: E0512000 80020003
	v_mfma_f32_16x16x32_f16 v[112:115], a[24:27], v[36:39], 0  // 0000000063B8: D3D40070 0A024918
	ds_read_b128 a[0:3], v17                                   // 0000000063C0: DBFE0000 00000011
	ds_read_b128 a[4:7], v17 offset:1024                       // 0000000063C8: DBFE0400 04000011
	v_mfma_f32_16x16x32_f16 v[112:115], a[28:31], v[40:43], v[112:115]// 0000000063D0: D3D40070 0DC2511C
	s_mov_b32 m0, s90                                          // 0000000063D8: BEFC005A
	buffer_load_dwordx4 v4, s[20:23], 0 idxen lds              // 0000000063DC: E05D2000 80050004
	v_mfma_f32_16x16x32_f16 v[112:115], a[32:35], v[44:47], v[112:115]// 0000000063E4: D3D40070 0DC25920
	ds_read_b128 a[8:11], v17 offset:2048                      // 0000000063EC: DBFE0800 08000011
	ds_read_b128 a[12:15], v17 offset:3072                     // 0000000063F4: DBFE0C00 0C000011
	v_mfma_f32_16x16x32_f16 v[112:115], a[36:39], v[48:51], v[112:115]// 0000000063FC: D3D40070 0DC26124
	v_mul_f32_e32 v108, s47, v108                              // 000000006404: 0AD8D82F
	v_mul_f32_e32 v109, s47, v109                              // 000000006408: 0ADADA2F
	s_mov_b32 m0, s78                                          // 00000000640C: BEFC004E
	buffer_load_dword v11, s[24:27], 0 idxen lds               // 000000006410: E0512000 8006000B
	v_mfma_f32_16x16x32_f16 v[112:115], a[40:43], v[52:55], v[112:115]// 000000006418: D3D40070 0DC26928
	ds_read_b128 a[16:19], v17 offset:4096                     // 000000006420: DBFE1000 10000011
	ds_read_b128 a[20:23], v17 offset:5120                     // 000000006428: DBFE1400 14000011
	v_mfma_f32_16x16x32_f16 v[112:115], a[44:47], v[56:59], v[112:115]// 000000006430: D3D40070 0DC2712C
	s_add_u32 s60, 64, s59                                     // 000000006438: 803C3BC0
	s_cmp_lt_u32 s60, s58                                      // 00000000643C: BF0A3A3C
	s_cselect_b32 s68, s68, 0                                  // 000000006440: 85448044
	s_cselect_b32 s101, s101, 0                                // 000000006444: 85658065
	s_cselect_b32 s69, s69, 0                                  // 000000006448: 85458045
	v_mfma_f32_16x16x32_f16 v[116:119], a[48:51], v[36:39], 0  // 00000000644C: D3D40074 0A024930
	ds_read_b128 a[24:27], v17 offset:24576                    // 000000006454: DBFE6000 18000011
	ds_read_b128 a[28:31], v17 offset:25600                    // 00000000645C: DBFE6400 1C000011
	v_mfma_f32_16x16x32_f16 v[116:119], a[52:55], v[40:43], v[116:119]// 000000006464: D3D40074 0DD25134
	v_add_u32_e32 v1, s68, v1                                  // 00000000646C: 68020244
	v_add_u32_e32 v2, s68, v2                                  // 000000006470: 68040444
	v_add_u32_e32 v3, s68, v3                                  // 000000006474: 68060644
	v_add_u32_e32 v4, s101, v4                                 // 000000006478: 68080865
	v_add_u32_e32 v11, s69, v11                                // 00000000647C: 68161645
	s_waitcnt lgkmcnt(14)                                      // 000000006480: BF8CCE7F
	v_mfma_f32_16x16x32_f16 v[116:119], a[56:59], v[44:47], v[116:119]// 000000006484: D3D40074 0DD25938
	ds_read_b128 a[32:35], v17 offset:26624                    // 00000000648C: DBFE6800 20000011
	ds_read_b128 a[36:39], v17 offset:27648                    // 000000006494: DBFE6C00 24000011
	v_mfma_f32_16x16x32_f16 v[116:119], a[60:63], v[48:51], v[116:119]// 00000000649C: D3D40074 0DD2613C
	v_mul_f32_e32 v110, s47, v110                              // 0000000064A4: 0ADCDC2F
	v_mul_f32_e32 v111, s47, v111                              // 0000000064A8: 0ADEDE2F
	s_cmp_ge_u32 s59, s73                                      // 0000000064AC: BF09493B
	s_cselect_b32 s66, s67, s66                                // 0000000064B0: 85424243
	v_mfma_f32_16x16x32_f16 v[116:119], v[248:251], v[52:55], v[116:119]// 0000000064B4: D3D40074 05D269F8
	ds_read_b128 a[40:43], v17 offset:28672                    // 0000000064BC: DBFE7000 28000011
	ds_read_b128 a[44:47], v17 offset:29696                    // 0000000064C4: DBFE7400 2C000011
	v_mfma_f32_16x16x32_f16 v[116:119], v[252:255], v[56:59], v[116:119]// 0000000064CC: D3D40074 05D271FC
	s_addk_i32 s59, 0x10                                       // 0000000064D4: B73B0010
	v_mul_f32_e32 v112, s47, v112                              // 0000000064D8: 0AE0E02F
	v_mul_f32_e32 v113, s47, v113                              // 0000000064DC: 0AE2E22F
	s_cmp_lt_i32 s59, s58                                      // 0000000064E0: BF043A3B
	s_cbranch_scc0 label_0F4C                                  // 0000000064E4: BF840603
	s_waitcnt lgkmcnt(2)                                       // 0000000064E8: BF8CC27F
	v_mfma_f32_16x16x32_f16 v[36:39], v[224:227], a[0:3], 0    // 0000000064EC: D3D40024 120201E0
	ds_read_b128 a[48:51], v17 offset:49152                    // 0000000064F4: DBFEC000 30000011
	ds_read_b128 a[52:55], v17 offset:50176                    // 0000000064FC: DBFEC400 34000011
	v_mfma_f32_16x16x32_f16 v[36:39], v[228:231], a[4:7], v[36:39]// 000000006504: D3D40024 149209E4
	v_add_u32_e32 v7, s66, v7                                  // 00000000650C: 680E0E42
	v_add_u32_e32 v8, s66, v8                                  // 000000006510: 68101042
	v_add_u32_e32 v9, s66, v9                                  // 000000006514: 68121242
	v_mfma_f32_16x16x32_f16 v[36:39], v[232:235], a[8:11], v[36:39]// 000000006518: D3D40024 149211E8
	ds_read_b128 a[56:59], v17 offset:51200                    // 000000006520: DBFEC800 38000011
	ds_read_b128 a[60:63], v17 offset:52224                    // 000000006528: DBFECC00 3C000011
	v_mfma_f32_16x16x32_f16 v[36:39], v[236:239], a[12:15], v[36:39]// 000000006530: D3D40024 149219EC
	v_cvt_pk_f16_f32 v108, v108, v109                          // 000000006538: D267006C 0002DB6C
	v_cvt_pk_f16_f32 v109, v110, v111                          // 000000006540: D267006D 0002DF6E
	v_mfma_f32_16x16x32_f16 v[36:39], v[240:243], a[16:19], v[36:39]// 000000006548: D3D40024 149221F0
	ds_read_b128 v[248:251], v17 offset:53248                  // 000000006550: D9FED000 F8000011
	ds_read_b128 v[252:255], v17 offset:54272                  // 000000006558: D9FED400 FC000011
	v_mfma_f32_16x16x32_f16 v[36:39], v[244:247], a[20:23], v[36:39]// 000000006560: D3D40024 149229F4
	v_mul_f32_e32 v114, s47, v114                              // 000000006568: 0AE4E42F
	v_mul_f32_e32 v115, s47, v115                              // 00000000656C: 0AE6E62F
	v_mfma_f32_16x16x32_f16 v[40:43], v[224:227], a[24:27], 0  // 000000006570: D3D40028 120231E0
	ds_read_b128 v[72:75], v12 offset:22528                    // 000000006578: D9FE5800 4800000C
	ds_read_b128 v[76:79], v12 offset:23552                    // 000000006580: D9FE5C00 4C00000C
	v_mfma_f32_16x16x32_f16 v[40:43], v[228:231], a[28:31], v[40:43]// 000000006588: D3D40028 14A239E4
	v_mul_f32_e32 v116, s47, v116                              // 000000006590: 0AE8E82F
	v_mul_f32_e32 v117, s47, v117                              // 000000006594: 0AEAEA2F
	v_mfma_f32_16x16x32_f16 v[40:43], v[232:235], a[32:35], v[40:43]// 000000006598: D3D40028 14A241E8
	ds_read_b128 v[80:83], v12 offset:24576                    // 0000000065A0: D9FE6000 5000000C
	ds_read_b128 v[84:87], v12 offset:25600                    // 0000000065A8: D9FE6400 5400000C
	v_mfma_f32_16x16x32_f16 v[40:43], v[236:239], a[36:39], v[40:43]// 0000000065B0: D3D40028 14A249EC
	v_mul_f32_e32 v118, s47, v118                              // 0000000065B8: 0AECEC2F
	v_mul_f32_e32 v119, s47, v119                              // 0000000065BC: 0AEEEE2F
	v_cvt_pk_f16_f32 v110, v112, v113                          // 0000000065C0: D267006E 0002E370
	v_cvt_pk_f16_f32 v111, v114, v115                          // 0000000065C8: D267006F 0002E772
	s_waitcnt lgkmcnt(10)                                      // 0000000065D0: BF8CCA7F
	v_mfma_f32_16x16x32_f16 v[40:43], v[240:243], a[40:43], v[40:43]// 0000000065D4: D3D40028 14A251F0
	ds_read_b64_tr_b16 v[88:89], v13 offset:22528              // 0000000065DC: D9C65800 5800000D
	ds_read_b64_tr_b16 v[90:91], v13 offset:22784              // 0000000065E4: D9C65900 5A00000D
	v_mfma_f32_16x16x32_f16 v[40:43], v[244:247], a[44:47], v[40:43]// 0000000065EC: D3D40028 14A259F4
	v_fma_f32 v36, v36, s57, -v104                             // 0000000065F4: D1CB0024 85A07324
	v_fma_f32 v37, v37, s57, -v105                             // 0000000065FC: D1CB0025 85A47325
	s_waitcnt lgkmcnt(10)                                      // 000000006604: BF8CCA7F
	v_mfma_f32_16x16x32_f16 v[44:47], v[224:227], a[48:51], 0  // 000000006608: D3D4002C 120261E0
	ds_read_b64_tr_b16 v[92:93], v13 offset:23552              // 000000006610: D9C65C00 5C00000D
	ds_read_b64_tr_b16 v[94:95], v13 offset:23808              // 000000006618: D9C65D00 5E00000D
	v_mfma_f32_16x16x32_f16 v[44:47], v[228:231], a[52:55], v[44:47]// 000000006620: D3D4002C 14B269E4
	v_fma_f32 v38, v38, s57, -v106                             // 000000006628: D1CB0026 85A87326
	v_fma_f32 v39, v39, s57, -v107                             // 000000006630: D1CB0027 85AC7327
	s_waitcnt lgkmcnt(10)                                      // 000000006638: BF8CCA7F
	v_mfma_f32_16x16x32_f16 v[44:47], v[232:235], a[56:59], v[44:47]// 00000000663C: D3D4002C 14B271E8
	ds_read_b64_tr_b16 v[96:97], v13 offset:24576              // 000000006644: D9C66000 6000000D
	ds_read_b64_tr_b16 v[98:99], v13 offset:24832              // 00000000664C: D9C66100 6200000D
	v_mfma_f32_16x16x32_f16 v[44:47], v[236:239], a[60:63], v[44:47]// 000000006654: D3D4002C 14B279EC
	v_fma_f32 v40, v40, s57, -v104                             // 00000000665C: D1CB0028 85A07328
	v_fma_f32 v41, v41, s57, -v105                             // 000000006664: D1CB0029 85A47329
	v_cvt_pk_f16_f32 v112, v116, v117                          // 00000000666C: D2670070 0002EB74
	v_cvt_pk_f16_f32 v113, v118, v119                          // 000000006674: D2670071 0002EF76
	s_waitcnt lgkmcnt(10)                                      // 00000000667C: BF8CCA7F
	v_mfma_f32_16x16x32_f16 v[44:47], v[240:243], v[248:251], v[44:47]// 000000006680: D3D4002C 04B3F1F0
	ds_read_b64_tr_b16 v[100:101], v13 offset:25600            // 000000006688: D9C66400 6400000D
	ds_read_b64_tr_b16 v[102:103], v13 offset:25856            // 000000006690: D9C66500 6600000D
	v_mfma_f32_16x16x32_f16 v[44:47], v[244:247], v[252:255], v[44:47]// 000000006698: D3D4002C 04B3F9F4
	v_fma_f32 v42, v42, s57, -v106                             // 0000000066A0: D1CB002A 85A8732A
	v_fma_f32 v43, v43, s57, -v107                             // 0000000066A8: D1CB002B 85AC732B
	s_cmp_lt_i32 s74, 12                                       // 0000000066B0: BF048C4A
	s_cbranch_scc0 label_0A28                                  // 0000000066B4: BF840075
	s_mov_b32 s60, 0xffe0fffe                                  // 0000000066B8: BEBC00FF FFE0FFFE
	s_mov_b32 s61, 0xe000fe00                                  // 0000000066C0: BEBD00FF E000FE00
	s_nop 0                                                    // 0000000066C8: BF800000
	s_add_u32 s62, 0, s46                                      // 0000000066CC: 803E2E80
	s_cmp_lt_i32 s74, s62                                      // 0000000066D0: BF043E4A
	s_cbranch_scc1 label_09E3                                  // 0000000066D4: BF850028
	s_cmp_eq_i32 s74, s62                                      // 0000000066D8: BF003E4A
	s_cbranch_scc1 label_09C8                                  // 0000000066DC: BF85000B
	s_add_u32 s62, 4, s46                                      // 0000000066E0: 803E2E84
	s_cmp_lt_i32 s74, s62                                      // 0000000066E4: BF043E4A
	s_cbranch_scc1 label_0A03                                  // 0000000066E8: BF850043
	s_cmp_eq_i32 s74, s62                                      // 0000000066EC: BF003E4A
	s_cbranch_scc1 label_09E8                                  // 0000000066F0: BF850026
	s_add_u32 s62, 8, s46                                      // 0000000066F4: 803E2E88
	s_cmp_lt_i32 s74, s62                                      // 0000000066F8: BF043E4A
	s_cbranch_scc1 label_0A23                                  // 0000000066FC: BF85005E
	s_cmp_eq_i32 s74, s62                                      // 000000006700: BF003E4A
	s_cbranch_scc1 label_0A08                                  // 000000006704: BF850041
	s_branch label_0A28                                        // 000000006708: BF820060

000000000000670c <label_09C8>:
	v_cndmask_b32_e64 v36, v36, v127, s[60:61]                 // 00000000670C: D1000024 00F2FF24
	s_lshl_b32 s60, s60, 1                                     // 000000006714: 8E3C813C
	s_lshl_b32 s61, s61, 1                                     // 000000006718: 8E3D813D
	s_and_b32 s60, 0xfffeffff, s60                             // 00000000671C: 863C3CFF FFFEFFFF
	s_and_b32 s61, 0xfffeffff, s61                             // 000000006724: 863D3DFF FFFEFFFF
	v_cndmask_b32_e64 v37, v37, v127, s[60:61]                 // 00000000672C: D1000025 00F2FF25
	s_lshl_b32 s60, s60, 1                                     // 000000006734: 8E3C813C
	s_lshl_b32 s61, s61, 1                                     // 000000006738: 8E3D813D
	s_and_b32 s60, 0xfffeffff, s60                             // 00000000673C: 863C3CFF FFFEFFFF
	s_and_b32 s61, 0xfffeffff, s61                             // 000000006744: 863D3DFF FFFEFFFF
	v_cndmask_b32_e64 v38, v38, v127, s[60:61]                 // 00000000674C: D1000026 00F2FF26
	s_lshl_b32 s60, s60, 1                                     // 000000006754: 8E3C813C
	s_lshl_b32 s61, s61, 1                                     // 000000006758: 8E3D813D
	s_and_b32 s60, 0xfffeffff, s60                             // 00000000675C: 863C3CFF FFFEFFFF
	s_and_b32 s61, 0xfffeffff, s61                             // 000000006764: 863D3DFF FFFEFFFF
	v_cndmask_b32_e64 v39, v39, v127, s[60:61]                 // 00000000676C: D1000027 00F2FF27
	s_branch label_0A03                                        // 000000006774: BF820020

0000000000006778 <label_09E3>:
	v_mov_b32_e32 v36, v127                                    // 000000006778: 7E48037F
	v_mov_b32_e32 v37, v127                                    // 00000000677C: 7E4A037F
	v_mov_b32_e32 v38, v127                                    // 000000006780: 7E4C037F
	v_mov_b32_e32 v39, v127                                    // 000000006784: 7E4E037F
	s_branch label_0A03                                        // 000000006788: BF82001B

000000000000678c <label_09E8>:
	v_cndmask_b32_e64 v40, v40, v127, s[60:61]                 // 00000000678C: D1000028 00F2FF28
	s_lshl_b32 s60, s60, 1                                     // 000000006794: 8E3C813C
	s_lshl_b32 s61, s61, 1                                     // 000000006798: 8E3D813D
	s_and_b32 s60, 0xfffeffff, s60                             // 00000000679C: 863C3CFF FFFEFFFF
	s_and_b32 s61, 0xfffeffff, s61                             // 0000000067A4: 863D3DFF FFFEFFFF
	v_cndmask_b32_e64 v41, v41, v127, s[60:61]                 // 0000000067AC: D1000029 00F2FF29
	s_lshl_b32 s60, s60, 1                                     // 0000000067B4: 8E3C813C
	s_lshl_b32 s61, s61, 1                                     // 0000000067B8: 8E3D813D
	s_and_b32 s60, 0xfffeffff, s60                             // 0000000067BC: 863C3CFF FFFEFFFF
	s_and_b32 s61, 0xfffeffff, s61                             // 0000000067C4: 863D3DFF FFFEFFFF
	v_cndmask_b32_e64 v42, v42, v127, s[60:61]                 // 0000000067CC: D100002A 00F2FF2A
	s_lshl_b32 s60, s60, 1                                     // 0000000067D4: 8E3C813C
	s_lshl_b32 s61, s61, 1                                     // 0000000067D8: 8E3D813D
	s_and_b32 s60, 0xfffeffff, s60                             // 0000000067DC: 863C3CFF FFFEFFFF
	s_and_b32 s61, 0xfffeffff, s61                             // 0000000067E4: 863D3DFF FFFEFFFF
	v_cndmask_b32_e64 v43, v43, v127, s[60:61]                 // 0000000067EC: D100002B 00F2FF2B
	s_branch label_0A23                                        // 0000000067F4: BF820020

00000000000067f8 <label_0A03>:
	v_mov_b32_e32 v40, v127                                    // 0000000067F8: 7E50037F
	v_mov_b32_e32 v41, v127                                    // 0000000067FC: 7E52037F
	v_mov_b32_e32 v42, v127                                    // 000000006800: 7E54037F
	v_mov_b32_e32 v43, v127                                    // 000000006804: 7E56037F
	s_branch label_0A23                                        // 000000006808: BF82001B

000000000000680c <label_0A08>:
	v_cndmask_b32_e64 v44, v44, v127, s[60:61]                 // 00000000680C: D100002C 00F2FF2C
	s_lshl_b32 s60, s60, 1                                     // 000000006814: 8E3C813C
	s_lshl_b32 s61, s61, 1                                     // 000000006818: 8E3D813D
	s_and_b32 s60, 0xfffeffff, s60                             // 00000000681C: 863C3CFF FFFEFFFF
	s_and_b32 s61, 0xfffeffff, s61                             // 000000006824: 863D3DFF FFFEFFFF
	v_cndmask_b32_e64 v45, v45, v127, s[60:61]                 // 00000000682C: D100002D 00F2FF2D
	s_lshl_b32 s60, s60, 1                                     // 000000006834: 8E3C813C
	s_lshl_b32 s61, s61, 1                                     // 000000006838: 8E3D813D
	s_and_b32 s60, 0xfffeffff, s60                             // 00000000683C: 863C3CFF FFFEFFFF
	s_and_b32 s61, 0xfffeffff, s61                             // 000000006844: 863D3DFF FFFEFFFF
	v_cndmask_b32_e64 v46, v46, v127, s[60:61]                 // 00000000684C: D100002E 00F2FF2E
	s_lshl_b32 s60, s60, 1                                     // 000000006854: 8E3C813C
	s_lshl_b32 s61, s61, 1                                     // 000000006858: 8E3D813D
	s_and_b32 s60, 0xfffeffff, s60                             // 00000000685C: 863C3CFF FFFEFFFF
	s_and_b32 s61, 0xfffeffff, s61                             // 000000006864: 863D3DFF FFFEFFFF
	v_cndmask_b32_e64 v47, v47, v127, s[60:61]                 // 00000000686C: D100002F 00F2FF2F
	s_branch label_0A28                                        // 000000006874: BF820005

0000000000006878 <label_0A23>:
	v_mov_b32_e32 v44, v127                                    // 000000006878: 7E58037F
	v_mov_b32_e32 v45, v127                                    // 00000000687C: 7E5A037F
	v_mov_b32_e32 v46, v127                                    // 000000006880: 7E5C037F
	v_mov_b32_e32 v47, v127                                    // 000000006884: 7E5E037F
	s_branch label_0A28                                        // 000000006888: BF820000

000000000000688c <label_0A28>:
	s_cmp_lt_i32 s64, 0xc0                                     // 00000000688C: BF04FF40 000000C0
	s_cbranch_scc0 label_0A7D                                  // 000000006894: BF84004D
	s_cmp_le_i32 s64, 64                                       // 000000006898: BF05C040
	s_cbranch_scc1 label_0A34                                  // 00000000689C: BF850007
	s_cmp_le_i32 s64, 0x80                                     // 0000000068A0: BF05FF40 00000080
	s_cbranch_scc1 label_0A4C                                  // 0000000068A8: BF850017
	s_cmp_lt_i32 s64, 0xc0                                     // 0000000068AC: BF04FF40 000000C0
	s_cbranch_scc1 label_0A64                                  // 0000000068B4: BF85002C
	s_branch label_0A7D                                        // 0000000068B8: BF820044

00000000000068bc <label_0A34>:
	s_mov_b32 s60, 0                                           // 0000000068BC: BEBC0080
	v_and_b32_e32 v32, 15, v0                                  // 0000000068C0: 2640008F
	v_add_u32_e64 v32, v32, s60                                // 0000000068C4: D1340020 00007920
	v_mul_i32_i24_e64 v33, s46, 16                             // 0000000068CC: D1060021 0001202E
	v_add_u32_e32 v32, v32, v33                                // 0000000068D4: 68404320
	v_cmp_lt_u32_e64 s[60:61], v32, s64                        // 0000000068D8: D0C9003C 00008120
	s_nop 1                                                    // 0000000068E0: BF800001
	v_cndmask_b32_e64 v36, v127, v36, s[60:61]                 // 0000000068E4: D1000024 00F2497F
	v_cndmask_b32_e64 v37, v127, v37, s[60:61]                 // 0000000068EC: D1000025 00F24B7F
	v_cndmask_b32_e64 v38, v127, v38, s[60:61]                 // 0000000068F4: D1000026 00F24D7F
	v_cndmask_b32_e64 v39, v127, v39, s[60:61]                 // 0000000068FC: D1000027 00F24F7F
	s_branch label_0A5F                                        // 000000006904: BF820013

0000000000006908 <label_0A4C>:
	s_mov_b32 s60, 64                                          // 000000006908: BEBC00C0
	v_and_b32_e32 v32, 15, v0                                  // 00000000690C: 2640008F
	v_add_u32_e64 v32, v32, s60                                // 000000006910: D1340020 00007920
	v_mul_i32_i24_e64 v33, s46, 16                             // 000000006918: D1060021 0001202E
	v_add_u32_e32 v32, v32, v33                                // 000000006920: 68404320
	v_cmp_lt_u32_e64 s[60:61], v32, s64                        // 000000006924: D0C9003C 00008120
	s_nop 1                                                    // 00000000692C: BF800001
	v_cndmask_b32_e64 v40, v127, v40, s[60:61]                 // 000000006930: D1000028 00F2517F
	v_cndmask_b32_e64 v41, v127, v41, s[60:61]                 // 000000006938: D1000029 00F2537F
	v_cndmask_b32_e64 v42, v127, v42, s[60:61]                 // 000000006940: D100002A 00F2557F
	v_cndmask_b32_e64 v43, v127, v43, s[60:61]                 // 000000006948: D100002B 00F2577F
	s_branch label_0A78                                        // 000000006950: BF820019

0000000000006954 <label_0A5F>:
	v_mov_b32_e32 v40, v127                                    // 000000006954: 7E50037F
	v_mov_b32_e32 v41, v127                                    // 000000006958: 7E52037F
	v_mov_b32_e32 v42, v127                                    // 00000000695C: 7E54037F
	v_mov_b32_e32 v43, v127                                    // 000000006960: 7E56037F
	s_branch label_0A78                                        // 000000006964: BF820014

0000000000006968 <label_0A64>:
	s_mov_b32 s60, 0x80                                        // 000000006968: BEBC00FF 00000080
	v_and_b32_e32 v32, 15, v0                                  // 000000006970: 2640008F
	v_add_u32_e64 v32, v32, s60                                // 000000006974: D1340020 00007920
	v_mul_i32_i24_e64 v33, s46, 16                             // 00000000697C: D1060021 0001202E
	v_add_u32_e32 v32, v32, v33                                // 000000006984: 68404320
	v_cmp_lt_u32_e64 s[60:61], v32, s64                        // 000000006988: D0C9003C 00008120
	s_nop 1                                                    // 000000006990: BF800001
	v_cndmask_b32_e64 v44, v127, v44, s[60:61]                 // 000000006994: D100002C 00F2597F
	v_cndmask_b32_e64 v45, v127, v45, s[60:61]                 // 00000000699C: D100002D 00F25B7F
	v_cndmask_b32_e64 v46, v127, v46, s[60:61]                 // 0000000069A4: D100002E 00F25D7F
	v_cndmask_b32_e64 v47, v127, v47, s[60:61]                 // 0000000069AC: D100002F 00F25F7F
	s_branch label_0A7D                                        // 0000000069B4: BF820005

00000000000069b8 <label_0A78>:
	v_mov_b32_e32 v44, v127                                    // 0000000069B8: 7E58037F
	v_mov_b32_e32 v45, v127                                    // 0000000069BC: 7E5A037F
	v_mov_b32_e32 v46, v127                                    // 0000000069C0: 7E5C037F
	v_mov_b32_e32 v47, v127                                    // 0000000069C4: 7E5E037F
	s_branch label_0A7D                                        // 0000000069C8: BF820000

00000000000069cc <label_0A7D>:
	s_addk_i32 s74, 0x1                                        // 0000000069CC: B74A0001
	s_waitcnt lgkmcnt(8)                                       // 0000000069D0: BF8CC87F
	v_mfma_f32_16x16x32_f16 v[60:63], v[72:75], a[64:67], 0    // 0000000069D4: D3D4003C 12028148
	v_exp_f32_e32 v36, v36                                     // 0000000069DC: 7E484124
	v_exp_f32_e32 v37, v37                                     // 0000000069E0: 7E4A4125
	v_mfma_f32_16x16x32_f16 v[60:63], v[76:79], a[68:71], v[60:63]// 0000000069E4: D3D4003C 14F2894C
	v_exp_f32_e32 v38, v38                                     // 0000000069EC: 7E4C4126
	v_exp_f32_e32 v39, v39                                     // 0000000069F0: 7E4E4127
	v_mfma_f32_16x16x32_f16 v[60:63], v[80:83], a[72:75], v[60:63]// 0000000069F4: D3D4003C 14F29150
	ds_read_b64_tr_b16 v[224:225], v13 offset:6144             // 0000000069FC: D9C61800 E000000D
	ds_read_b64_tr_b16 v[226:227], v13 offset:6400             // 000000006A04: D9C61900 E200000D
	ds_read_b64_tr_b16 v[228:229], v13 offset:7168             // 000000006A0C: D9C61C00 E400000D
	ds_read_b64_tr_b16 v[230:231], v13 offset:7424             // 000000006A14: D9C61D00 E600000D
	v_mfma_f32_16x16x32_f16 v[60:63], v[84:87], a[76:79], v[60:63]// 000000006A1C: D3D4003C 14F29954
	v_fma_f32 v44, v44, s57, -v104                             // 000000006A24: D1CB002C 85A0732C
	v_fma_f32 v45, v45, s57, -v105                             // 000000006A2C: D1CB002D 85A4732D
	v_exp_f32_e32 v40, v40                                     // 000000006A34: 7E504128
	v_exp_f32_e32 v41, v41                                     // 000000006A38: 7E524129
	buffer_atomic_pk_add_f16 v108, v7, s[32:35], 0 offen       // 000000006A3C: E1381000 80086C07
	v_mfma_f32_16x16x32_f16 v[64:67], v[72:75], a[80:83], 0    // 000000006A44: D3D40040 1202A148
	ds_read_b64_tr_b16 v[232:233], v13 offset:8192             // 000000006A4C: D9C62000 E800000D
	ds_read_b64_tr_b16 v[234:235], v13 offset:8448             // 000000006A54: D9C62100 EA00000D
	ds_read_b64_tr_b16 v[236:237], v13 offset:9216             // 000000006A5C: D9C62400 EC00000D
	ds_read_b64_tr_b16 v[238:239], v13 offset:9472             // 000000006A64: D9C62500 EE00000D
	v_mfma_f32_16x16x32_f16 v[64:67], v[76:79], a[84:87], v[64:67]// 000000006A6C: D3D40040 1502A94C
	v_fma_f32 v46, v46, s57, -v106                             // 000000006A74: D1CB002E 85A8732E
	v_fma_f32 v47, v47, s57, -v107                             // 000000006A7C: D1CB002F 85AC732F
	v_exp_f32_e32 v42, v42                                     // 000000006A84: 7E54412A
	v_exp_f32_e32 v43, v43                                     // 000000006A88: 7E56412B
	v_mfma_f32_16x16x32_f16 v[64:67], v[80:83], a[88:91], v[64:67]// 000000006A8C: D3D40040 1502B150
	v_exp_f32_e32 v44, v44                                     // 000000006A94: 7E58412C
	v_exp_f32_e32 v45, v45                                     // 000000006A98: 7E5A412D
	v_mfma_f32_16x16x32_f16 v[64:67], v[84:87], a[92:95], v[64:67]// 000000006A9C: D3D40040 1502B954
	v_cvt_pk_f16_f32 v120, v36, v37                            // 000000006AA4: D2670078 00024B24
	v_cvt_pk_f16_f32 v121, v38, v39                            // 000000006AAC: D2670079 00024F26
	v_cvt_pk_f16_f32 v122, v40, v41                            // 000000006AB4: D267007A 00025328
	v_cvt_pk_f16_f32 v123, v42, v43                            // 000000006ABC: D267007B 0002572A
	v_mfma_f32_16x16x32_f16 v[68:71], v[72:75], a[96:99], 0    // 000000006AC4: D3D40044 1202C148
	v_exp_f32_e32 v46, v46                                     // 000000006ACC: 7E5C412E
	v_exp_f32_e32 v47, v47                                     // 000000006AD0: 7E5E412F
	v_mfma_f32_16x16x32_f16 v[68:71], v[76:79], a[100:103], v[68:71]// 000000006AD4: D3D40044 1512C94C
	v_permlane16_swap_b32_e32 v120, v122                       // 000000006ADC: 7EF0B37A
	v_permlane16_swap_b32_e32 v121, v123                       // 000000006AE0: 7EF2B37B
	v_mfma_f32_16x16x32_f16 v[68:71], v[80:83], a[104:107], v[68:71]// 000000006AE4: D3D40044 1512D150
	ds_read_b64_tr_b16 v[240:241], v13 offset:10240            // 000000006AEC: D9C62800 F000000D
	ds_read_b64_tr_b16 v[242:243], v13 offset:10496            // 000000006AF4: D9C62900 F200000D
	ds_read_b64_tr_b16 v[244:245], v13 offset:11264            // 000000006AFC: D9C62C00 F400000D
	ds_read_b64_tr_b16 v[246:247], v13 offset:11520            // 000000006B04: D9C62D00 F600000D
	v_mfma_f32_16x16x32_f16 v[68:71], v[84:87], a[108:111], v[68:71]// 000000006B0C: D3D40044 1512D954
	v_cvt_pk_f16_f32 v124, v44, v45                            // 000000006B14: D267007C 00025B2C
	v_cvt_pk_f16_f32 v125, v46, v47                            // 000000006B1C: D267007D 00025F2E
	buffer_atomic_pk_add_f16 v109, v7, s[32:35], 0 offen offset:768// 000000006B24: E1381300 80086D07
	s_waitcnt lgkmcnt(12)                                      // 000000006B2C: BF8CCC7F
	v_mfma_f32_32x32x16_f16 v[128:143], v[88:91], v[120:123], v[128:143]// 000000006B30: D3D50080 0602F158
	ds_read_b64_tr_b16 a[0:1], v19                             // 000000006B38: DBC60000 00000013
	ds_read_b64_tr_b16 a[2:3], v19 offset:256                  // 000000006B40: DBC60100 02000013
	ds_read_b64_tr_b16 a[4:5], v19 offset:12288                // 000000006B48: DBC63000 04000013
	ds_read_b64_tr_b16 a[6:7], v19 offset:12544                // 000000006B50: DBC63100 06000013
	ds_read_b64_tr_b16 a[8:9], v19 offset:24576                // 000000006B58: DBC66000 08000013
	buffer_atomic_pk_add_f16 v110, v8, s[32:35], 0 offen       // 000000006B60: E1381000 80086E08
	v_mfma_f32_32x32x16_f16 v[144:159], v[92:95], v[120:123], v[144:159]// 000000006B68: D3D50090 0642F15C
	v_subrev_f32_dpp v60, v126, v60 quad_perm:[0,0,0,0] row_mask:0xf bank_mask:0xf// 000000006B70: 067878FA FF00007E
	v_subrev_f32_dpp v61, v126, v61 quad_perm:[1,1,1,1] row_mask:0xf bank_mask:0xf// 000000006B78: 067A7AFA FF00557E
	v_subrev_f32_dpp v62, v126, v62 quad_perm:[2,2,2,2] row_mask:0xf bank_mask:0xf// 000000006B80: 067C7CFA FF00AA7E
	v_subrev_f32_dpp v63, v126, v63 quad_perm:[3,3,3,3] row_mask:0xf bank_mask:0xf// 000000006B88: 067E7EFA FF00FF7E
	v_subrev_f32_dpp v64, v126, v64 quad_perm:[0,0,0,0] row_mask:0xf bank_mask:0xf// 000000006B90: 068080FA FF00007E
	v_subrev_f32_dpp v65, v126, v65 quad_perm:[1,1,1,1] row_mask:0xf bank_mask:0xf// 000000006B98: 068282FA FF00557E
	v_subrev_f32_dpp v66, v126, v66 quad_perm:[2,2,2,2] row_mask:0xf bank_mask:0xf// 000000006BA0: 068484FA FF00AA7E
	v_subrev_f32_dpp v67, v126, v67 quad_perm:[3,3,3,3] row_mask:0xf bank_mask:0xf// 000000006BA8: 068686FA FF00FF7E
	v_mul_f32_e32 v60, v36, v60                                // 000000006BB0: 0A787924
	v_mul_f32_e32 v61, v37, v61                                // 000000006BB4: 0A7A7B25
	v_mul_f32_e32 v62, v38, v62                                // 000000006BB8: 0A7C7D26
	v_mul_f32_e32 v63, v39, v63                                // 000000006BBC: 0A7E7F27
	v_mfma_f32_32x32x16_f16 v[160:175], v[96:99], v[120:123], v[160:175]// 000000006BC0: D3D500A0 0682F160
	ds_read_b64_tr_b16 a[10:11], v19 offset:24832              // 000000006BC8: DBC66100 0A000013
	ds_read_b64_tr_b16 a[12:13], v19 offset:36864              // 000000006BD0: DBC69000 0C000013
	ds_read_b64_tr_b16 a[14:15], v19 offset:37120              // 000000006BD8: DBC69100 0E000013
	ds_read_b64_tr_b16 a[16:17], v19 offset:49152              // 000000006BE0: DBC6C000 10000013
	ds_read_b64_tr_b16 a[18:19], v19 offset:49408              // 000000006BE8: DBC6C100 12000013
	ds_read_b32 v104, v16 offset:38656                         // 000000006BF0: D86C9700 68000010
	v_mfma_f32_32x32x16_f16 v[176:191], v[100:103], v[120:123], v[176:191]// 000000006BF8: D3D500B0 06C2F164
	v_mul_f32_e32 v64, v40, v64                                // 000000006C00: 0A808128
	v_mul_f32_e32 v65, v41, v65                                // 000000006C04: 0A828329
	v_mul_f32_e32 v66, v42, v66                                // 000000006C08: 0A84852A
	v_mul_f32_e32 v67, v43, v67                                // 000000006C0C: 0A86872B
	v_permlane16_swap_b32_e32 v88, v90                         // 000000006C10: 7EB0B35A
	v_permlane16_swap_b32_e32 v89, v91                         // 000000006C14: 7EB2B35B
	v_cvt_pk_f16_f32 v60, v60, v61                             // 000000006C18: D267003C 00027B3C
	v_cvt_pk_f16_f32 v61, v62, v63                             // 000000006C20: D267003D 00027F3E
	v_cvt_pk_f16_f32 v62, v64, v65                             // 000000006C28: D267003E 00028340
	v_cvt_pk_f16_f32 v63, v66, v67                             // 000000006C30: D267003F 00028742
	v_permlane16_swap_b32_e32 v92, v94                         // 000000006C38: 7EB8B35E
	v_permlane16_swap_b32_e32 v93, v95                         // 000000006C3C: 7EBAB35F
	v_mfma_f32_16x16x16_f16 v[192:195], v[88:89], v[124:125], v[192:195]// 000000006C40: D3CD00C0 0702F958
	buffer_atomic_pk_add_f16 v111, v8, s[32:35], 0 offen offset:768// 000000006C48: E1381300 80086F08
	ds_write_b64 v15, v[60:61] offset:30720                    // 000000006C50: D89A7800 00003C0F
	ds_write_b64 v15, v[62:63] offset:33024                    // 000000006C58: D89A8100 00003E0F
	v_mfma_f32_16x16x16_f16 v[196:199], v[90:91], v[124:125], v[196:199]// 000000006C60: D3CD00C4 0712F95A
	v_permlane16_swap_b32_e32 v96, v98                         // 000000006C68: 7EC0B362
	v_permlane16_swap_b32_e32 v97, v99                         // 000000006C6C: 7EC2B363
	v_subrev_f32_dpp v68, v126, v68 quad_perm:[0,0,0,0] row_mask:0xf bank_mask:0xf// 000000006C70: 068888FA FF00007E
	v_subrev_f32_dpp v69, v126, v69 quad_perm:[1,1,1,1] row_mask:0xf bank_mask:0xf// 000000006C78: 068A8AFA FF00557E
	v_mfma_f32_16x16x16_f16 v[200:203], v[92:93], v[124:125], v[200:203]// 000000006C80: D3CD00C8 0722F95C
	v_permlane16_swap_b32_e32 v100, v102                       // 000000006C88: 7EC8B366
	v_permlane16_swap_b32_e32 v101, v103                       // 000000006C8C: 7ECAB367
	v_subrev_f32_dpp v70, v126, v70 quad_perm:[2,2,2,2] row_mask:0xf bank_mask:0xf// 000000006C90: 068C8CFA FF00AA7E
	v_subrev_f32_dpp v71, v126, v71 quad_perm:[3,3,3,3] row_mask:0xf bank_mask:0xf// 000000006C98: 068E8EFA FF00FF7E
	v_mfma_f32_16x16x16_f16 v[204:207], v[94:95], v[124:125], v[204:207]// 000000006CA0: D3CD00CC 0732F95E
	v_permlane16_swap_b32_e32 v60, v62                         // 000000006CA8: 7E78B33E
	v_permlane16_swap_b32_e32 v61, v63                         // 000000006CAC: 7E7AB33F
	v_mfma_f32_16x16x16_f16 v[208:211], v[96:97], v[124:125], v[208:211]// 000000006CB0: D3CD00D0 0742F960
	ds_read_b64_tr_b16 a[20:21], v19 offset:61440              // 000000006CB8: DBC6F000 14000013
	ds_read_b64_tr_b16 a[22:23], v19 offset:61696              // 000000006CC0: DBC6F100 16000013
	ds_read_b64_tr_b16 a[24:25], v20                           // 000000006CC8: DBC60000 18000014
	v_mfma_f32_16x16x16_f16 v[212:215], v[98:99], v[124:125], v[212:215]// 000000006CD0: D3CD00D4 0752F962
	v_mul_f32_e32 v68, v44, v68                                // 000000006CD8: 0A88892C
	v_mul_f32_e32 v69, v45, v69                                // 000000006CDC: 0A8A8B2D
	v_mul_f32_e32 v70, v46, v70                                // 000000006CE0: 0A8C8D2E
	v_mfma_f32_16x16x16_f16 v[216:219], v[100:101], v[124:125], v[216:219]// 000000006CE4: D3CD00D8 0762F964
	ds_read_b32 v126, v16 offset:38912                         // 000000006CEC: D86C9800 7E000010
	ds_read_b64_tr_b16 a[26:27], v20 offset:256                // 000000006CF4: DBC60100 1A000014
	ds_read_b64_tr_b16 a[28:29], v20 offset:12288              // 000000006CFC: DBC63000 1C000014
	v_mfma_f32_16x16x16_f16 v[220:223], v[102:103], v[124:125], v[220:223]// 000000006D04: D3CD00DC 0772F966
	v_mul_f32_e32 v71, v47, v71                                // 000000006D0C: 0A8E8F2F
	v_cvt_pk_f16_f32 v64, v68, v69                             // 000000006D10: D2670040 00028B44
	v_cvt_pk_f16_f32 v65, v70, v71                             // 000000006D18: D2670041 00028F46
	s_waitcnt lgkmcnt(8)                                       // 000000006D20: BF8CC87F
	v_mfma_f32_32x32x16_f16 a[112:127], v[224:227], v[60:63], a[112:127]// 000000006D24: D3D58070 05C279E0
	ds_read_b64_tr_b16 a[30:31], v20 offset:12544              // 000000006D2C: DBC63100 1E000014
	ds_write_b64 v15, v[64:65] offset:35328                    // 000000006D34: D89A8A00 0000400F
	ds_read_b64_tr_b16 a[32:33], v20 offset:24576              // 000000006D3C: DBC66000 20000014
	ds_read_b64_tr_b16 a[34:35], v20 offset:24832              // 000000006D44: DBC66100 22000014
	v_mfma_f32_32x32x16_f16 a[128:143], v[228:231], v[60:63], a[128:143]// 000000006D4C: D3D58080 060279E4
	v_mul_f32_e32 v104, s48, v104                              // 000000006D54: 0AD0D030
	buffer_atomic_pk_add_f16 v112, v9, s[32:35], 0 offen       // 000000006D58: E1381000 80087009
	v_mfma_f32_32x32x16_f16 a[144:159], v[232:235], v[60:63], a[144:159]// 000000006D60: D3D58090 064279E8
	ds_read_b64_tr_b16 a[36:37], v20 offset:36864              // 000000006D68: DBC69000 24000014
	ds_read_b64_tr_b16 a[38:39], v20 offset:37120              // 000000006D70: DBC69100 26000014
	ds_read_b64_tr_b16 a[40:41], v20 offset:49152              // 000000006D78: DBC6C000 28000014
	ds_read_b64_tr_b16 a[42:43], v20 offset:49408              // 000000006D80: DBC6C100 2A000014
	ds_read_b64_tr_b16 a[44:45], v20 offset:61440              // 000000006D88: DBC6F000 2C000014
	ds_read_b64_tr_b16 a[46:47], v20 offset:61696              // 000000006D90: DBC6F100 2E000014
	v_mfma_f32_32x32x16_f16 a[160:175], v[236:239], v[60:63], a[160:175]// 000000006D98: D3D580A0 068279EC
	.long 0x7fc0b3e2                                           // 000000006DA0: 7FC0B3E2
	.long 0x7fc2b3e3                                           // 000000006DA4: 7FC2B3E3
	s_waitcnt lgkmcnt(8)                                       // 000000006DA8: BF8CC87F
	s_barrier                                                  // 000000006DAC: BF8A0000
	v_mfma_f32_32x32x16_f16 a[176:191], v[240:243], v[60:63], a[176:191]// 000000006DB0: D3D580B0 06C279F0
	ds_read_b64_tr_b16 v[36:37], v14 offset:30720              // 000000006DB8: D9C67800 2400000E
	ds_read_b64_tr_b16 v[38:39], v14 offset:30752              // 000000006DC0: D9C67820 2600000E
	ds_read_b64_tr_b16 v[40:41], v14 offset:31872              // 000000006DC8: D9C67C80 2800000E
	ds_read_b64_tr_b16 v[42:43], v14 offset:31904              // 000000006DD0: D9C67CA0 2A00000E
	ds_read_b64_tr_b16 v[44:45], v14 offset:33024              // 000000006DD8: D9C68100 2C00000E
	ds_read_b64_tr_b16 v[46:47], v14 offset:33056              // 000000006DE0: D9C68120 2E00000E
	v_mfma_f32_32x32x16_f16 a[192:207], v[244:247], v[60:63], a[192:207]// 000000006DE8: D3D580C0 070279F4
	.long 0x7fc8b3e6                                           // 000000006DF0: 7FC8B3E6
	.long 0x7fcab3e7                                           // 000000006DF4: 7FCAB3E7
	v_mov_b32_dpp v107, v104 quad_perm:[3,3,3,3] row_mask:0xf bank_mask:0xf// 000000006DF8: 7ED602FA FF00FF68
	v_mov_b32_dpp v106, v104 quad_perm:[2,2,2,2] row_mask:0xf bank_mask:0xf// 000000006E00: 7ED402FA FF00AA68
	v_mfma_f32_16x16x16_f16 a[208:211], v[224:225], v[64:65], a[208:211]// 000000006E08: D3CD80D0 074281E0
	ds_read_b64_tr_b16 v[48:49], v14 offset:34176              // 000000006E10: D9C68580 3000000E
	ds_read_b64_tr_b16 v[50:51], v14 offset:34208              // 000000006E18: D9C685A0 3200000E
	ds_read_b64_tr_b16 v[52:53], v14 offset:35328              // 000000006E20: D9C68A00 3400000E
	v_mfma_f32_16x16x16_f16 a[212:215], v[226:227], v[64:65], a[212:215]// 000000006E28: D3CD80D4 075281E2
	.long 0x7fd0b3ea                                           // 000000006E30: 7FD0B3EA
	.long 0x7fd2b3eb                                           // 000000006E34: 7FD2B3EB
	v_mfma_f32_16x16x16_f16 a[216:219], v[228:229], v[64:65], a[216:219]// 000000006E38: D3CD80D8 076281E4
	ds_read_b64_tr_b16 v[54:55], v14 offset:35360              // 000000006E40: D9C68A20 3600000E
	ds_read_b64_tr_b16 v[56:57], v14 offset:36480              // 000000006E48: D9C68E80 3800000E
	ds_read_b64_tr_b16 v[58:59], v14 offset:36512              // 000000006E50: D9C68EA0 3A00000E
	v_mfma_f32_16x16x16_f16 a[220:223], v[230:231], v[64:65], a[220:223]// 000000006E58: D3CD80DC 077281E6
	v_permlane16_swap_b32_e32 v236, v238                       // 000000006E60: 7FD8B3EE
	v_permlane16_swap_b32_e32 v237, v239                       // 000000006E64: 7FDAB3EF
	v_mfma_f32_16x16x16_f16 a[224:227], v[232:233], v[64:65], a[224:227]// 000000006E68: D3CD80E0 078281E8
	ds_read_b64_tr_b16 a[48:49], v21                           // 000000006E70: DBC60000 30000015
	ds_read_b64_tr_b16 a[50:51], v21 offset:256                // 000000006E78: DBC60100 32000015
	ds_read_b64_tr_b16 a[52:53], v21 offset:12288              // 000000006E80: DBC63000 34000015
	v_mfma_f32_16x16x16_f16 a[228:231], v[234:235], v[64:65], a[228:231]// 000000006E88: D3CD80E4 079281EA
	v_permlane16_swap_b32_e32 v240, v242                       // 000000006E90: 7FE0B3F2
	v_permlane16_swap_b32_e32 v241, v243                       // 000000006E94: 7FE2B3F3
	v_mfma_f32_16x16x16_f16 a[232:235], v[236:237], v[64:65], a[232:235]// 000000006E98: D3CD80E8 07A281EC
	ds_read_b64_tr_b16 a[54:55], v21 offset:12544              // 000000006EA0: DBC63100 36000015
	ds_read_b64_tr_b16 a[56:57], v21 offset:24576              // 000000006EA8: DBC66000 38000015
	ds_read_b64_tr_b16 a[58:59], v21 offset:24832              // 000000006EB0: DBC66100 3A000015
	v_mfma_f32_16x16x16_f16 a[236:239], v[238:239], v[64:65], a[236:239]// 000000006EB8: D3CD80EC 07B281EE
	v_permlane16_swap_b32_e32 v244, v246                       // 000000006EC0: 7FE8B3F6
	v_permlane16_swap_b32_e32 v245, v247                       // 000000006EC4: 7FEAB3F7
	v_mfma_f32_16x16x16_f16 a[240:243], v[240:241], v[64:65], a[240:243]// 000000006EC8: D3CD80F0 07C281F0
	ds_read_b64_tr_b16 a[60:61], v21 offset:36864              // 000000006ED0: DBC69000 3C000015
	ds_read_b64_tr_b16 a[62:63], v21 offset:37120              // 000000006ED8: DBC69100 3E000015
	ds_read_b64_tr_b16 v[248:249], v21 offset:49152            // 000000006EE0: D9C6C000 F8000015
	v_mfma_f32_16x16x16_f16 a[244:247], v[242:243], v[64:65], a[244:247]// 000000006EE8: D3CD80F4 07D281F2
	v_mov_b32_dpp v105, v104 quad_perm:[1,1,1,1] row_mask:0xf bank_mask:0xf// 000000006EF0: 7ED202FA FF005568
	buffer_atomic_pk_add_f16 v113, v9, s[32:35], 0 offen offset:768// 000000006EF8: E1381300 80087109
	v_mfma_f32_16x16x16_f16 a[248:251], v[244:245], v[64:65], a[248:251]// 000000006F00: D3CD80F8 07E281F4
	ds_read_b64_tr_b16 v[250:251], v21 offset:49408            // 000000006F08: D9C6C100 FA000015
	ds_read_b64_tr_b16 v[252:253], v21 offset:61440            // 000000006F10: D9C6F000 FC000015
	ds_read_b64_tr_b16 v[254:255], v21 offset:61696            // 000000006F18: D9C6F100 FE000015
	v_mfma_f32_16x16x16_f16 a[252:255], v[246:247], v[64:65], a[252:255]// 000000006F20: D3CD80FC 07F281F6
	v_mov_b32_dpp v104, v104 quad_perm:[0,0,0,0] row_mask:0xf bank_mask:0xf// 000000006F28: 7ED002FA FF000068
	s_waitcnt vmcnt(6) lgkmcnt(6)                              // 000000006F30: BF8C0676
	s_barrier                                                  // 000000006F34: BF8A0000
	v_mfma_f32_16x16x32_f16 v[108:111], a[0:3], v[36:39], 0    // 000000006F38: D3D4006C 0A024900
	ds_read_b128 v[224:227], v12 offset:12288                  // 000000006F40: D9FE3000 E000000C
	ds_read_b128 v[228:231], v12 offset:13312                  // 000000006F48: D9FE3400 E400000C
	v_mfma_f32_16x16x32_f16 v[108:111], a[4:7], v[40:43], v[108:111]// 000000006F50: D3D4006C 0DB25104
	s_mov_b32 m0, s84                                          // 000000006F58: BEFC0054
	buffer_load_dwordx4 v1, s[8:11], 0 idxen lds               // 000000006F5C: E05D2000 80020001
	v_mfma_f32_16x16x32_f16 v[108:111], a[8:11], v[44:47], v[108:111]// 000000006F64: D3D4006C 0DB25908
	ds_read_b128 v[232:235], v12 offset:14336                  // 000000006F6C: D9FE3800 E800000C
	ds_read_b128 v[236:239], v12 offset:15360                  // 000000006F74: D9FE3C00 EC00000C
	v_mfma_f32_16x16x32_f16 v[108:111], a[12:15], v[48:51], v[108:111]// 000000006F7C: D3D4006C 0DB2610C
	s_mov_b32 m0, s85                                          // 000000006F84: BEFC0055
	buffer_load_dword v2, s[8:11], 0 idxen lds                 // 000000006F88: E0512000 80020002
	v_mfma_f32_16x16x32_f16 v[108:111], a[16:19], v[52:55], v[108:111]// 000000006F90: D3D4006C 0DB26910
	ds_read_b128 v[240:243], v12 offset:16384                  // 000000006F98: D9FE4000 F000000C
	ds_read_b128 v[244:247], v12 offset:17408                  // 000000006FA0: D9FE4400 F400000C
	v_mfma_f32_16x16x32_f16 v[108:111], a[20:23], v[56:59], v[108:111]// 000000006FA8: D3D4006C 0DB27114
	s_mov_b32 m0, s86                                          // 000000006FB0: BEFC0056
	buffer_load_dword v3, s[8:11], 0 idxen lds                 // 000000006FB4: E0512000 80020003
	v_mfma_f32_16x16x32_f16 v[112:115], a[24:27], v[36:39], 0  // 000000006FBC: D3D40070 0A024918
	ds_read_b128 a[0:3], v17                                   // 000000006FC4: DBFE0000 00000011
	ds_read_b128 a[4:7], v17 offset:1024                       // 000000006FCC: DBFE0400 04000011
	v_mfma_f32_16x16x32_f16 v[112:115], a[28:31], v[40:43], v[112:115]// 000000006FD4: D3D40070 0DC2511C
	s_mov_b32 m0, s91                                          // 000000006FDC: BEFC005B
	buffer_load_dwordx4 v4, s[20:23], 0 idxen lds              // 000000006FE0: E05D2000 80050004
	v_mfma_f32_16x16x32_f16 v[112:115], a[32:35], v[44:47], v[112:115]// 000000006FE8: D3D40070 0DC25920
	ds_read_b128 a[8:11], v17 offset:2048                      // 000000006FF0: DBFE0800 08000011
	ds_read_b128 a[12:15], v17 offset:3072                     // 000000006FF8: DBFE0C00 0C000011
	v_mfma_f32_16x16x32_f16 v[112:115], a[36:39], v[48:51], v[112:115]// 000000007000: D3D40070 0DC26124
	v_mul_f32_e32 v108, s47, v108                              // 000000007008: 0AD8D82F
	v_mul_f32_e32 v109, s47, v109                              // 00000000700C: 0ADADA2F
	s_mov_b32 m0, s79                                          // 000000007010: BEFC004F
	buffer_load_dword v11, s[24:27], 0 idxen lds               // 000000007014: E0512000 8006000B
	v_mfma_f32_16x16x32_f16 v[112:115], a[40:43], v[52:55], v[112:115]// 00000000701C: D3D40070 0DC26928
	ds_read_b128 a[16:19], v17 offset:4096                     // 000000007024: DBFE1000 10000011
	ds_read_b128 a[20:23], v17 offset:5120                     // 00000000702C: DBFE1400 14000011
	v_mfma_f32_16x16x32_f16 v[112:115], a[44:47], v[56:59], v[112:115]// 000000007034: D3D40070 0DC2712C
	s_add_u32 s60, 64, s59                                     // 00000000703C: 803C3BC0
	s_cmp_lt_u32 s60, s58                                      // 000000007040: BF0A3A3C
	s_cselect_b32 s68, s68, 0                                  // 000000007044: 85448044
	s_cselect_b32 s101, s101, 0                                // 000000007048: 85658065
	s_cselect_b32 s69, s69, 0                                  // 00000000704C: 85458045
	v_mfma_f32_16x16x32_f16 v[116:119], a[48:51], v[36:39], 0  // 000000007050: D3D40074 0A024930
	ds_read_b128 a[24:27], v17 offset:24576                    // 000000007058: DBFE6000 18000011
	ds_read_b128 a[28:31], v17 offset:25600                    // 000000007060: DBFE6400 1C000011
	v_mfma_f32_16x16x32_f16 v[116:119], a[52:55], v[40:43], v[116:119]// 000000007068: D3D40074 0DD25134
	v_add_u32_e32 v1, s68, v1                                  // 000000007070: 68020244
	v_add_u32_e32 v2, s68, v2                                  // 000000007074: 68040444
	;; [unrolled: 1-line block ×3, first 2 shown]
	v_add_u32_e32 v4, s101, v4                                 // 00000000707C: 68080865
	v_add_u32_e32 v11, s69, v11                                // 000000007080: 68161645
	s_waitcnt lgkmcnt(14)                                      // 000000007084: BF8CCE7F
	v_mfma_f32_16x16x32_f16 v[116:119], a[56:59], v[44:47], v[116:119]// 000000007088: D3D40074 0DD25938
	ds_read_b128 a[32:35], v17 offset:26624                    // 000000007090: DBFE6800 20000011
	ds_read_b128 a[36:39], v17 offset:27648                    // 000000007098: DBFE6C00 24000011
	v_mfma_f32_16x16x32_f16 v[116:119], a[60:63], v[48:51], v[116:119]// 0000000070A0: D3D40074 0DD2613C
	v_mul_f32_e32 v110, s47, v110                              // 0000000070A8: 0ADCDC2F
	v_mul_f32_e32 v111, s47, v111                              // 0000000070AC: 0ADEDE2F
	s_cmp_ge_u32 s59, s73                                      // 0000000070B0: BF09493B
	s_cselect_b32 s66, s67, s66                                // 0000000070B4: 85424243
	v_mfma_f32_16x16x32_f16 v[116:119], v[248:251], v[52:55], v[116:119]// 0000000070B8: D3D40074 05D269F8
	ds_read_b128 a[40:43], v17 offset:28672                    // 0000000070C0: DBFE7000 28000011
	ds_read_b128 a[44:47], v17 offset:29696                    // 0000000070C8: DBFE7400 2C000011
	v_mfma_f32_16x16x32_f16 v[116:119], v[252:255], v[56:59], v[116:119]// 0000000070D0: D3D40074 05D271FC
	s_addk_i32 s59, 0x10                                       // 0000000070D8: B73B0010
	v_mul_f32_e32 v112, s47, v112                              // 0000000070DC: 0AE0E02F
	v_mul_f32_e32 v113, s47, v113                              // 0000000070E0: 0AE2E22F
	s_cmp_lt_i32 s59, s58                                      // 0000000070E4: BF043A3B
	s_cbranch_scc0 label_0F4C                                  // 0000000070E8: BF840302
	s_waitcnt lgkmcnt(2)                                       // 0000000070EC: BF8CC27F
	v_mfma_f32_16x16x32_f16 v[36:39], v[224:227], a[0:3], 0    // 0000000070F0: D3D40024 120201E0
	ds_read_b128 a[48:51], v17 offset:49152                    // 0000000070F8: DBFEC000 30000011
	ds_read_b128 a[52:55], v17 offset:50176                    // 000000007100: DBFEC400 34000011
	v_mfma_f32_16x16x32_f16 v[36:39], v[228:231], a[4:7], v[36:39]// 000000007108: D3D40024 149209E4
	v_add_u32_e32 v7, s66, v7                                  // 000000007110: 680E0E42
	v_add_u32_e32 v8, s66, v8                                  // 000000007114: 68101042
	v_add_u32_e32 v9, s66, v9                                  // 000000007118: 68121242
	v_mfma_f32_16x16x32_f16 v[36:39], v[232:235], a[8:11], v[36:39]// 00000000711C: D3D40024 149211E8
	ds_read_b128 a[56:59], v17 offset:51200                    // 000000007124: DBFEC800 38000011
	ds_read_b128 a[60:63], v17 offset:52224                    // 00000000712C: DBFECC00 3C000011
	v_mfma_f32_16x16x32_f16 v[36:39], v[236:239], a[12:15], v[36:39]// 000000007134: D3D40024 149219EC
	v_cvt_pk_f16_f32 v108, v108, v109                          // 00000000713C: D267006C 0002DB6C
	v_cvt_pk_f16_f32 v109, v110, v111                          // 000000007144: D267006D 0002DF6E
	v_mfma_f32_16x16x32_f16 v[36:39], v[240:243], a[16:19], v[36:39]// 00000000714C: D3D40024 149221F0
	ds_read_b128 v[248:251], v17 offset:53248                  // 000000007154: D9FED000 F8000011
	ds_read_b128 v[252:255], v17 offset:54272                  // 00000000715C: D9FED400 FC000011
	v_mfma_f32_16x16x32_f16 v[36:39], v[244:247], a[20:23], v[36:39]// 000000007164: D3D40024 149229F4
	v_mul_f32_e32 v114, s47, v114                              // 00000000716C: 0AE4E42F
	v_mul_f32_e32 v115, s47, v115                              // 000000007170: 0AE6E62F
	v_mfma_f32_16x16x32_f16 v[40:43], v[224:227], a[24:27], 0  // 000000007174: D3D40028 120231E0
	ds_read_b128 v[72:75], v12 offset:26624                    // 00000000717C: D9FE6800 4800000C
	ds_read_b128 v[76:79], v12 offset:27648                    // 000000007184: D9FE6C00 4C00000C
	v_mfma_f32_16x16x32_f16 v[40:43], v[228:231], a[28:31], v[40:43]// 00000000718C: D3D40028 14A239E4
	v_mul_f32_e32 v116, s47, v116                              // 000000007194: 0AE8E82F
	v_mul_f32_e32 v117, s47, v117                              // 000000007198: 0AEAEA2F
	v_mfma_f32_16x16x32_f16 v[40:43], v[232:235], a[32:35], v[40:43]// 00000000719C: D3D40028 14A241E8
	ds_read_b128 v[80:83], v12 offset:28672                    // 0000000071A4: D9FE7000 5000000C
	ds_read_b128 v[84:87], v12 offset:29696                    // 0000000071AC: D9FE7400 5400000C
	v_mfma_f32_16x16x32_f16 v[40:43], v[236:239], a[36:39], v[40:43]// 0000000071B4: D3D40028 14A249EC
	v_mul_f32_e32 v118, s47, v118                              // 0000000071BC: 0AECEC2F
	v_mul_f32_e32 v119, s47, v119                              // 0000000071C0: 0AEEEE2F
	v_cvt_pk_f16_f32 v110, v112, v113                          // 0000000071C4: D267006E 0002E370
	v_cvt_pk_f16_f32 v111, v114, v115                          // 0000000071CC: D267006F 0002E772
	s_waitcnt lgkmcnt(10)                                      // 0000000071D4: BF8CCA7F
	v_mfma_f32_16x16x32_f16 v[40:43], v[240:243], a[40:43], v[40:43]// 0000000071D8: D3D40028 14A251F0
	ds_read_b64_tr_b16 v[88:89], v13 offset:26624              // 0000000071E0: D9C66800 5800000D
	ds_read_b64_tr_b16 v[90:91], v13 offset:26880              // 0000000071E8: D9C66900 5A00000D
	v_mfma_f32_16x16x32_f16 v[40:43], v[244:247], a[44:47], v[40:43]// 0000000071F0: D3D40028 14A259F4
	v_fma_f32 v36, v36, s57, -v104                             // 0000000071F8: D1CB0024 85A07324
	v_fma_f32 v37, v37, s57, -v105                             // 000000007200: D1CB0025 85A47325
	s_waitcnt lgkmcnt(10)                                      // 000000007208: BF8CCA7F
	v_mfma_f32_16x16x32_f16 v[44:47], v[224:227], a[48:51], 0  // 00000000720C: D3D4002C 120261E0
	ds_read_b64_tr_b16 v[92:93], v13 offset:27648              // 000000007214: D9C66C00 5C00000D
	ds_read_b64_tr_b16 v[94:95], v13 offset:27904              // 00000000721C: D9C66D00 5E00000D
	v_mfma_f32_16x16x32_f16 v[44:47], v[228:231], a[52:55], v[44:47]// 000000007224: D3D4002C 14B269E4
	v_fma_f32 v38, v38, s57, -v106                             // 00000000722C: D1CB0026 85A87326
	v_fma_f32 v39, v39, s57, -v107                             // 000000007234: D1CB0027 85AC7327
	s_waitcnt lgkmcnt(10)                                      // 00000000723C: BF8CCA7F
	v_mfma_f32_16x16x32_f16 v[44:47], v[232:235], a[56:59], v[44:47]// 000000007240: D3D4002C 14B271E8
	ds_read_b64_tr_b16 v[96:97], v13 offset:28672              // 000000007248: D9C67000 6000000D
	ds_read_b64_tr_b16 v[98:99], v13 offset:28928              // 000000007250: D9C67100 6200000D
	v_mfma_f32_16x16x32_f16 v[44:47], v[236:239], a[60:63], v[44:47]// 000000007258: D3D4002C 14B279EC
	v_fma_f32 v40, v40, s57, -v104                             // 000000007260: D1CB0028 85A07328
	v_fma_f32 v41, v41, s57, -v105                             // 000000007268: D1CB0029 85A47329
	v_cvt_pk_f16_f32 v112, v116, v117                          // 000000007270: D2670070 0002EB74
	v_cvt_pk_f16_f32 v113, v118, v119                          // 000000007278: D2670071 0002EF76
	s_waitcnt lgkmcnt(10)                                      // 000000007280: BF8CCA7F
	v_mfma_f32_16x16x32_f16 v[44:47], v[240:243], v[248:251], v[44:47]// 000000007284: D3D4002C 04B3F1F0
	ds_read_b64_tr_b16 v[100:101], v13 offset:29696            // 00000000728C: D9C67400 6400000D
	ds_read_b64_tr_b16 v[102:103], v13 offset:29952            // 000000007294: D9C67500 6600000D
	v_mfma_f32_16x16x32_f16 v[44:47], v[244:247], v[252:255], v[44:47]// 00000000729C: D3D4002C 04B3F9F4
	v_fma_f32 v42, v42, s57, -v106                             // 0000000072A4: D1CB002A 85A8732A
	v_fma_f32 v43, v43, s57, -v107                             // 0000000072AC: D1CB002B 85AC732B
	s_cmp_lt_i32 s74, 12                                       // 0000000072B4: BF048C4A
	s_cbranch_scc0 label_0D2E                                  // 0000000072B8: BF840075
	s_mov_b32 s60, 0xffe0fffe                                  // 0000000072BC: BEBC00FF FFE0FFFE
	s_mov_b32 s61, 0xe000fe00                                  // 0000000072C4: BEBD00FF E000FE00
	s_nop 0                                                    // 0000000072CC: BF800000
	s_add_u32 s62, 0, s46                                      // 0000000072D0: 803E2E80
	s_cmp_lt_i32 s74, s62                                      // 0000000072D4: BF043E4A
	s_cbranch_scc1 label_0CE9                                  // 0000000072D8: BF850028
	s_cmp_eq_i32 s74, s62                                      // 0000000072DC: BF003E4A
	s_cbranch_scc1 label_0CCE                                  // 0000000072E0: BF85000B
	s_add_u32 s62, 4, s46                                      // 0000000072E4: 803E2E84
	s_cmp_lt_i32 s74, s62                                      // 0000000072E8: BF043E4A
	s_cbranch_scc1 label_0D09                                  // 0000000072EC: BF850043
	s_cmp_eq_i32 s74, s62                                      // 0000000072F0: BF003E4A
	s_cbranch_scc1 label_0CEE                                  // 0000000072F4: BF850026
	s_add_u32 s62, 8, s46                                      // 0000000072F8: 803E2E88
	s_cmp_lt_i32 s74, s62                                      // 0000000072FC: BF043E4A
	s_cbranch_scc1 label_0D29                                  // 000000007300: BF85005E
	s_cmp_eq_i32 s74, s62                                      // 000000007304: BF003E4A
	s_cbranch_scc1 label_0D0E                                  // 000000007308: BF850041
	s_branch label_0D2E                                        // 00000000730C: BF820060

0000000000007310 <label_0CCE>:
	v_cndmask_b32_e64 v36, v36, v127, s[60:61]                 // 000000007310: D1000024 00F2FF24
	s_lshl_b32 s60, s60, 1                                     // 000000007318: 8E3C813C
	s_lshl_b32 s61, s61, 1                                     // 00000000731C: 8E3D813D
	s_and_b32 s60, 0xfffeffff, s60                             // 000000007320: 863C3CFF FFFEFFFF
	s_and_b32 s61, 0xfffeffff, s61                             // 000000007328: 863D3DFF FFFEFFFF
	v_cndmask_b32_e64 v37, v37, v127, s[60:61]                 // 000000007330: D1000025 00F2FF25
	s_lshl_b32 s60, s60, 1                                     // 000000007338: 8E3C813C
	s_lshl_b32 s61, s61, 1                                     // 00000000733C: 8E3D813D
	s_and_b32 s60, 0xfffeffff, s60                             // 000000007340: 863C3CFF FFFEFFFF
	s_and_b32 s61, 0xfffeffff, s61                             // 000000007348: 863D3DFF FFFEFFFF
	v_cndmask_b32_e64 v38, v38, v127, s[60:61]                 // 000000007350: D1000026 00F2FF26
	s_lshl_b32 s60, s60, 1                                     // 000000007358: 8E3C813C
	s_lshl_b32 s61, s61, 1                                     // 00000000735C: 8E3D813D
	s_and_b32 s60, 0xfffeffff, s60                             // 000000007360: 863C3CFF FFFEFFFF
	s_and_b32 s61, 0xfffeffff, s61                             // 000000007368: 863D3DFF FFFEFFFF
	v_cndmask_b32_e64 v39, v39, v127, s[60:61]                 // 000000007370: D1000027 00F2FF27
	s_branch label_0D09                                        // 000000007378: BF820020

000000000000737c <label_0CE9>:
	v_mov_b32_e32 v36, v127                                    // 00000000737C: 7E48037F
	v_mov_b32_e32 v37, v127                                    // 000000007380: 7E4A037F
	v_mov_b32_e32 v38, v127                                    // 000000007384: 7E4C037F
	v_mov_b32_e32 v39, v127                                    // 000000007388: 7E4E037F
	s_branch label_0D09                                        // 00000000738C: BF82001B

0000000000007390 <label_0CEE>:
	v_cndmask_b32_e64 v40, v40, v127, s[60:61]                 // 000000007390: D1000028 00F2FF28
	s_lshl_b32 s60, s60, 1                                     // 000000007398: 8E3C813C
	s_lshl_b32 s61, s61, 1                                     // 00000000739C: 8E3D813D
	s_and_b32 s60, 0xfffeffff, s60                             // 0000000073A0: 863C3CFF FFFEFFFF
	s_and_b32 s61, 0xfffeffff, s61                             // 0000000073A8: 863D3DFF FFFEFFFF
	v_cndmask_b32_e64 v41, v41, v127, s[60:61]                 // 0000000073B0: D1000029 00F2FF29
	s_lshl_b32 s60, s60, 1                                     // 0000000073B8: 8E3C813C
	s_lshl_b32 s61, s61, 1                                     // 0000000073BC: 8E3D813D
	s_and_b32 s60, 0xfffeffff, s60                             // 0000000073C0: 863C3CFF FFFEFFFF
	s_and_b32 s61, 0xfffeffff, s61                             // 0000000073C8: 863D3DFF FFFEFFFF
	v_cndmask_b32_e64 v42, v42, v127, s[60:61]                 // 0000000073D0: D100002A 00F2FF2A
	s_lshl_b32 s60, s60, 1                                     // 0000000073D8: 8E3C813C
	s_lshl_b32 s61, s61, 1                                     // 0000000073DC: 8E3D813D
	s_and_b32 s60, 0xfffeffff, s60                             // 0000000073E0: 863C3CFF FFFEFFFF
	s_and_b32 s61, 0xfffeffff, s61                             // 0000000073E8: 863D3DFF FFFEFFFF
	v_cndmask_b32_e64 v43, v43, v127, s[60:61]                 // 0000000073F0: D100002B 00F2FF2B
	s_branch label_0D29                                        // 0000000073F8: BF820020

00000000000073fc <label_0D09>:
	v_mov_b32_e32 v40, v127                                    // 0000000073FC: 7E50037F
	v_mov_b32_e32 v41, v127                                    // 000000007400: 7E52037F
	v_mov_b32_e32 v42, v127                                    // 000000007404: 7E54037F
	v_mov_b32_e32 v43, v127                                    // 000000007408: 7E56037F
	s_branch label_0D29                                        // 00000000740C: BF82001B

0000000000007410 <label_0D0E>:
	v_cndmask_b32_e64 v44, v44, v127, s[60:61]                 // 000000007410: D100002C 00F2FF2C
	s_lshl_b32 s60, s60, 1                                     // 000000007418: 8E3C813C
	s_lshl_b32 s61, s61, 1                                     // 00000000741C: 8E3D813D
	s_and_b32 s60, 0xfffeffff, s60                             // 000000007420: 863C3CFF FFFEFFFF
	s_and_b32 s61, 0xfffeffff, s61                             // 000000007428: 863D3DFF FFFEFFFF
	v_cndmask_b32_e64 v45, v45, v127, s[60:61]                 // 000000007430: D100002D 00F2FF2D
	s_lshl_b32 s60, s60, 1                                     // 000000007438: 8E3C813C
	s_lshl_b32 s61, s61, 1                                     // 00000000743C: 8E3D813D
	s_and_b32 s60, 0xfffeffff, s60                             // 000000007440: 863C3CFF FFFEFFFF
	s_and_b32 s61, 0xfffeffff, s61                             // 000000007448: 863D3DFF FFFEFFFF
	v_cndmask_b32_e64 v46, v46, v127, s[60:61]                 // 000000007450: D100002E 00F2FF2E
	s_lshl_b32 s60, s60, 1                                     // 000000007458: 8E3C813C
	s_lshl_b32 s61, s61, 1                                     // 00000000745C: 8E3D813D
	s_and_b32 s60, 0xfffeffff, s60                             // 000000007460: 863C3CFF FFFEFFFF
	s_and_b32 s61, 0xfffeffff, s61                             // 000000007468: 863D3DFF FFFEFFFF
	v_cndmask_b32_e64 v47, v47, v127, s[60:61]                 // 000000007470: D100002F 00F2FF2F
	s_branch label_0D2E                                        // 000000007478: BF820005

000000000000747c <label_0D29>:
	v_mov_b32_e32 v44, v127                                    // 00000000747C: 7E58037F
	v_mov_b32_e32 v45, v127                                    // 000000007480: 7E5A037F
	v_mov_b32_e32 v46, v127                                    // 000000007484: 7E5C037F
	v_mov_b32_e32 v47, v127                                    // 000000007488: 7E5E037F
	s_branch label_0D2E                                        // 00000000748C: BF820000

0000000000007490 <label_0D2E>:
	s_cmp_lt_i32 s64, 0xc0                                     // 000000007490: BF04FF40 000000C0
	s_cbranch_scc0 label_0D83                                  // 000000007498: BF84004D
	s_cmp_le_i32 s64, 64                                       // 00000000749C: BF05C040
	s_cbranch_scc1 label_0D3A                                  // 0000000074A0: BF850007
	s_cmp_le_i32 s64, 0x80                                     // 0000000074A4: BF05FF40 00000080
	s_cbranch_scc1 label_0D52                                  // 0000000074AC: BF850017
	s_cmp_lt_i32 s64, 0xc0                                     // 0000000074B0: BF04FF40 000000C0
	s_cbranch_scc1 label_0D6A                                  // 0000000074B8: BF85002C
	s_branch label_0D83                                        // 0000000074BC: BF820044

00000000000074c0 <label_0D3A>:
	s_mov_b32 s60, 0                                           // 0000000074C0: BEBC0080
	v_and_b32_e32 v32, 15, v0                                  // 0000000074C4: 2640008F
	v_add_u32_e64 v32, v32, s60                                // 0000000074C8: D1340020 00007920
	v_mul_i32_i24_e64 v33, s46, 16                             // 0000000074D0: D1060021 0001202E
	v_add_u32_e32 v32, v32, v33                                // 0000000074D8: 68404320
	v_cmp_lt_u32_e64 s[60:61], v32, s64                        // 0000000074DC: D0C9003C 00008120
	s_nop 1                                                    // 0000000074E4: BF800001
	v_cndmask_b32_e64 v36, v127, v36, s[60:61]                 // 0000000074E8: D1000024 00F2497F
	v_cndmask_b32_e64 v37, v127, v37, s[60:61]                 // 0000000074F0: D1000025 00F24B7F
	v_cndmask_b32_e64 v38, v127, v38, s[60:61]                 // 0000000074F8: D1000026 00F24D7F
	v_cndmask_b32_e64 v39, v127, v39, s[60:61]                 // 000000007500: D1000027 00F24F7F
	s_branch label_0D65                                        // 000000007508: BF820013

000000000000750c <label_0D52>:
	s_mov_b32 s60, 64                                          // 00000000750C: BEBC00C0
	v_and_b32_e32 v32, 15, v0                                  // 000000007510: 2640008F
	v_add_u32_e64 v32, v32, s60                                // 000000007514: D1340020 00007920
	v_mul_i32_i24_e64 v33, s46, 16                             // 00000000751C: D1060021 0001202E
	v_add_u32_e32 v32, v32, v33                                // 000000007524: 68404320
	v_cmp_lt_u32_e64 s[60:61], v32, s64                        // 000000007528: D0C9003C 00008120
	s_nop 1                                                    // 000000007530: BF800001
	v_cndmask_b32_e64 v40, v127, v40, s[60:61]                 // 000000007534: D1000028 00F2517F
	v_cndmask_b32_e64 v41, v127, v41, s[60:61]                 // 00000000753C: D1000029 00F2537F
	v_cndmask_b32_e64 v42, v127, v42, s[60:61]                 // 000000007544: D100002A 00F2557F
	v_cndmask_b32_e64 v43, v127, v43, s[60:61]                 // 00000000754C: D100002B 00F2577F
	s_branch label_0D7E                                        // 000000007554: BF820019

0000000000007558 <label_0D65>:
	v_mov_b32_e32 v40, v127                                    // 000000007558: 7E50037F
	v_mov_b32_e32 v41, v127                                    // 00000000755C: 7E52037F
	v_mov_b32_e32 v42, v127                                    // 000000007560: 7E54037F
	v_mov_b32_e32 v43, v127                                    // 000000007564: 7E56037F
	s_branch label_0D7E                                        // 000000007568: BF820014

000000000000756c <label_0D6A>:
	s_mov_b32 s60, 0x80                                        // 00000000756C: BEBC00FF 00000080
	v_and_b32_e32 v32, 15, v0                                  // 000000007574: 2640008F
	v_add_u32_e64 v32, v32, s60                                // 000000007578: D1340020 00007920
	v_mul_i32_i24_e64 v33, s46, 16                             // 000000007580: D1060021 0001202E
	v_add_u32_e32 v32, v32, v33                                // 000000007588: 68404320
	v_cmp_lt_u32_e64 s[60:61], v32, s64                        // 00000000758C: D0C9003C 00008120
	s_nop 1                                                    // 000000007594: BF800001
	v_cndmask_b32_e64 v44, v127, v44, s[60:61]                 // 000000007598: D100002C 00F2597F
	v_cndmask_b32_e64 v45, v127, v45, s[60:61]                 // 0000000075A0: D100002D 00F25B7F
	v_cndmask_b32_e64 v46, v127, v46, s[60:61]                 // 0000000075A8: D100002E 00F25D7F
	v_cndmask_b32_e64 v47, v127, v47, s[60:61]                 // 0000000075B0: D100002F 00F25F7F
	s_branch label_0D83                                        // 0000000075B8: BF820005

00000000000075bc <label_0D7E>:
	v_mov_b32_e32 v44, v127                                    // 0000000075BC: 7E58037F
	v_mov_b32_e32 v45, v127                                    // 0000000075C0: 7E5A037F
	v_mov_b32_e32 v46, v127                                    // 0000000075C4: 7E5C037F
	v_mov_b32_e32 v47, v127                                    // 0000000075C8: 7E5E037F
	s_branch label_0D83                                        // 0000000075CC: BF820000

00000000000075d0 <label_0D83>:
	s_addk_i32 s74, 0x1                                        // 0000000075D0: B74A0001
	s_waitcnt lgkmcnt(8)                                       // 0000000075D4: BF8CC87F
	v_mfma_f32_16x16x32_f16 v[60:63], v[72:75], a[64:67], 0    // 0000000075D8: D3D4003C 12028148
	v_exp_f32_e32 v36, v36                                     // 0000000075E0: 7E484124
	v_exp_f32_e32 v37, v37                                     // 0000000075E4: 7E4A4125
	v_mfma_f32_16x16x32_f16 v[60:63], v[76:79], a[68:71], v[60:63]// 0000000075E8: D3D4003C 14F2894C
	v_exp_f32_e32 v38, v38                                     // 0000000075F0: 7E4C4126
	v_exp_f32_e32 v39, v39                                     // 0000000075F4: 7E4E4127
	v_mfma_f32_16x16x32_f16 v[60:63], v[80:83], a[72:75], v[60:63]// 0000000075F8: D3D4003C 14F29150
	ds_read_b64_tr_b16 v[224:225], v13 offset:12288            // 000000007600: D9C63000 E000000D
	ds_read_b64_tr_b16 v[226:227], v13 offset:12544            // 000000007608: D9C63100 E200000D
	ds_read_b64_tr_b16 v[228:229], v13 offset:13312            // 000000007610: D9C63400 E400000D
	ds_read_b64_tr_b16 v[230:231], v13 offset:13568            // 000000007618: D9C63500 E600000D
	v_mfma_f32_16x16x32_f16 v[60:63], v[84:87], a[76:79], v[60:63]// 000000007620: D3D4003C 14F29954
	v_fma_f32 v44, v44, s57, -v104                             // 000000007628: D1CB002C 85A0732C
	v_fma_f32 v45, v45, s57, -v105                             // 000000007630: D1CB002D 85A4732D
	v_exp_f32_e32 v40, v40                                     // 000000007638: 7E504128
	v_exp_f32_e32 v41, v41                                     // 00000000763C: 7E524129
	buffer_atomic_pk_add_f16 v108, v7, s[32:35], 0 offen       // 000000007640: E1381000 80086C07
	v_mfma_f32_16x16x32_f16 v[64:67], v[72:75], a[80:83], 0    // 000000007648: D3D40040 1202A148
	ds_read_b64_tr_b16 v[232:233], v13 offset:14336            // 000000007650: D9C63800 E800000D
	ds_read_b64_tr_b16 v[234:235], v13 offset:14592            // 000000007658: D9C63900 EA00000D
	ds_read_b64_tr_b16 v[236:237], v13 offset:15360            // 000000007660: D9C63C00 EC00000D
	ds_read_b64_tr_b16 v[238:239], v13 offset:15616            // 000000007668: D9C63D00 EE00000D
	v_mfma_f32_16x16x32_f16 v[64:67], v[76:79], a[84:87], v[64:67]// 000000007670: D3D40040 1502A94C
	v_fma_f32 v46, v46, s57, -v106                             // 000000007678: D1CB002E 85A8732E
	v_fma_f32 v47, v47, s57, -v107                             // 000000007680: D1CB002F 85AC732F
	v_exp_f32_e32 v42, v42                                     // 000000007688: 7E54412A
	v_exp_f32_e32 v43, v43                                     // 00000000768C: 7E56412B
	v_mfma_f32_16x16x32_f16 v[64:67], v[80:83], a[88:91], v[64:67]// 000000007690: D3D40040 1502B150
	v_exp_f32_e32 v44, v44                                     // 000000007698: 7E58412C
	v_exp_f32_e32 v45, v45                                     // 00000000769C: 7E5A412D
	v_mfma_f32_16x16x32_f16 v[64:67], v[84:87], a[92:95], v[64:67]// 0000000076A0: D3D40040 1502B954
	v_cvt_pk_f16_f32 v120, v36, v37                            // 0000000076A8: D2670078 00024B24
	v_cvt_pk_f16_f32 v121, v38, v39                            // 0000000076B0: D2670079 00024F26
	v_cvt_pk_f16_f32 v122, v40, v41                            // 0000000076B8: D267007A 00025328
	v_cvt_pk_f16_f32 v123, v42, v43                            // 0000000076C0: D267007B 0002572A
	v_mfma_f32_16x16x32_f16 v[68:71], v[72:75], a[96:99], 0    // 0000000076C8: D3D40044 1202C148
	v_exp_f32_e32 v46, v46                                     // 0000000076D0: 7E5C412E
	v_exp_f32_e32 v47, v47                                     // 0000000076D4: 7E5E412F
	v_mfma_f32_16x16x32_f16 v[68:71], v[76:79], a[100:103], v[68:71]// 0000000076D8: D3D40044 1512C94C
	v_permlane16_swap_b32_e32 v120, v122                       // 0000000076E0: 7EF0B37A
	v_permlane16_swap_b32_e32 v121, v123                       // 0000000076E4: 7EF2B37B
	v_mfma_f32_16x16x32_f16 v[68:71], v[80:83], a[104:107], v[68:71]// 0000000076E8: D3D40044 1512D150
	ds_read_b64_tr_b16 v[240:241], v13 offset:16384            // 0000000076F0: D9C64000 F000000D
	ds_read_b64_tr_b16 v[242:243], v13 offset:16640            // 0000000076F8: D9C64100 F200000D
	ds_read_b64_tr_b16 v[244:245], v13 offset:17408            // 000000007700: D9C64400 F400000D
	ds_read_b64_tr_b16 v[246:247], v13 offset:17664            // 000000007708: D9C64500 F600000D
	v_mfma_f32_16x16x32_f16 v[68:71], v[84:87], a[108:111], v[68:71]// 000000007710: D3D40044 1512D954
	v_cvt_pk_f16_f32 v124, v44, v45                            // 000000007718: D267007C 00025B2C
	v_cvt_pk_f16_f32 v125, v46, v47                            // 000000007720: D267007D 00025F2E
	buffer_atomic_pk_add_f16 v109, v7, s[32:35], 0 offen offset:768// 000000007728: E1381300 80086D07
	s_waitcnt lgkmcnt(12)                                      // 000000007730: BF8CCC7F
	v_mfma_f32_32x32x16_f16 v[128:143], v[88:91], v[120:123], v[128:143]// 000000007734: D3D50080 0602F158
	ds_read_b64_tr_b16 a[0:1], v19                             // 00000000773C: DBC60000 00000013
	ds_read_b64_tr_b16 a[2:3], v19 offset:256                  // 000000007744: DBC60100 02000013
	ds_read_b64_tr_b16 a[4:5], v19 offset:12288                // 00000000774C: DBC63000 04000013
	ds_read_b64_tr_b16 a[6:7], v19 offset:12544                // 000000007754: DBC63100 06000013
	ds_read_b64_tr_b16 a[8:9], v19 offset:24576                // 00000000775C: DBC66000 08000013
	buffer_atomic_pk_add_f16 v110, v8, s[32:35], 0 offen       // 000000007764: E1381000 80086E08
	v_mfma_f32_32x32x16_f16 v[144:159], v[92:95], v[120:123], v[144:159]// 00000000776C: D3D50090 0642F15C
	v_subrev_f32_dpp v60, v126, v60 quad_perm:[0,0,0,0] row_mask:0xf bank_mask:0xf// 000000007774: 067878FA FF00007E
	v_subrev_f32_dpp v61, v126, v61 quad_perm:[1,1,1,1] row_mask:0xf bank_mask:0xf// 00000000777C: 067A7AFA FF00557E
	v_subrev_f32_dpp v62, v126, v62 quad_perm:[2,2,2,2] row_mask:0xf bank_mask:0xf// 000000007784: 067C7CFA FF00AA7E
	v_subrev_f32_dpp v63, v126, v63 quad_perm:[3,3,3,3] row_mask:0xf bank_mask:0xf// 00000000778C: 067E7EFA FF00FF7E
	v_subrev_f32_dpp v64, v126, v64 quad_perm:[0,0,0,0] row_mask:0xf bank_mask:0xf// 000000007794: 068080FA FF00007E
	v_subrev_f32_dpp v65, v126, v65 quad_perm:[1,1,1,1] row_mask:0xf bank_mask:0xf// 00000000779C: 068282FA FF00557E
	v_subrev_f32_dpp v66, v126, v66 quad_perm:[2,2,2,2] row_mask:0xf bank_mask:0xf// 0000000077A4: 068484FA FF00AA7E
	v_subrev_f32_dpp v67, v126, v67 quad_perm:[3,3,3,3] row_mask:0xf bank_mask:0xf// 0000000077AC: 068686FA FF00FF7E
	v_mul_f32_e32 v60, v36, v60                                // 0000000077B4: 0A787924
	v_mul_f32_e32 v61, v37, v61                                // 0000000077B8: 0A7A7B25
	v_mul_f32_e32 v62, v38, v62                                // 0000000077BC: 0A7C7D26
	v_mul_f32_e32 v63, v39, v63                                // 0000000077C0: 0A7E7F27
	v_mfma_f32_32x32x16_f16 v[160:175], v[96:99], v[120:123], v[160:175]// 0000000077C4: D3D500A0 0682F160
	ds_read_b64_tr_b16 a[10:11], v19 offset:24832              // 0000000077CC: DBC66100 0A000013
	ds_read_b64_tr_b16 a[12:13], v19 offset:36864              // 0000000077D4: DBC69000 0C000013
	ds_read_b64_tr_b16 a[14:15], v19 offset:37120              // 0000000077DC: DBC69100 0E000013
	ds_read_b64_tr_b16 a[16:17], v19 offset:49152              // 0000000077E4: DBC6C000 10000013
	ds_read_b64_tr_b16 a[18:19], v19 offset:49408              // 0000000077EC: DBC6C100 12000013
	ds_read_b32 v104, v16 offset:37632                         // 0000000077F4: D86C9300 68000010
	v_mfma_f32_32x32x16_f16 v[176:191], v[100:103], v[120:123], v[176:191]// 0000000077FC: D3D500B0 06C2F164
	v_mul_f32_e32 v64, v40, v64                                // 000000007804: 0A808128
	v_mul_f32_e32 v65, v41, v65                                // 000000007808: 0A828329
	v_mul_f32_e32 v66, v42, v66                                // 00000000780C: 0A84852A
	v_mul_f32_e32 v67, v43, v67                                // 000000007810: 0A86872B
	v_permlane16_swap_b32_e32 v88, v90                         // 000000007814: 7EB0B35A
	v_permlane16_swap_b32_e32 v89, v91                         // 000000007818: 7EB2B35B
	v_cvt_pk_f16_f32 v60, v60, v61                             // 00000000781C: D267003C 00027B3C
	v_cvt_pk_f16_f32 v61, v62, v63                             // 000000007824: D267003D 00027F3E
	v_cvt_pk_f16_f32 v62, v64, v65                             // 00000000782C: D267003E 00028340
	v_cvt_pk_f16_f32 v63, v66, v67                             // 000000007834: D267003F 00028742
	v_permlane16_swap_b32_e32 v92, v94                         // 00000000783C: 7EB8B35E
	v_permlane16_swap_b32_e32 v93, v95                         // 000000007840: 7EBAB35F
	v_mfma_f32_16x16x16_f16 v[192:195], v[88:89], v[124:125], v[192:195]// 000000007844: D3CD00C0 0702F958
	buffer_atomic_pk_add_f16 v111, v8, s[32:35], 0 offen offset:768// 00000000784C: E1381300 80086F08
	ds_write_b64 v15, v[60:61] offset:30720                    // 000000007854: D89A7800 00003C0F
	ds_write_b64 v15, v[62:63] offset:33024                    // 00000000785C: D89A8100 00003E0F
	v_mfma_f32_16x16x16_f16 v[196:199], v[90:91], v[124:125], v[196:199]// 000000007864: D3CD00C4 0712F95A
	v_permlane16_swap_b32_e32 v96, v98                         // 00000000786C: 7EC0B362
	v_permlane16_swap_b32_e32 v97, v99                         // 000000007870: 7EC2B363
	v_subrev_f32_dpp v68, v126, v68 quad_perm:[0,0,0,0] row_mask:0xf bank_mask:0xf// 000000007874: 068888FA FF00007E
	v_subrev_f32_dpp v69, v126, v69 quad_perm:[1,1,1,1] row_mask:0xf bank_mask:0xf// 00000000787C: 068A8AFA FF00557E
	v_mfma_f32_16x16x16_f16 v[200:203], v[92:93], v[124:125], v[200:203]// 000000007884: D3CD00C8 0722F95C
	v_permlane16_swap_b32_e32 v100, v102                       // 00000000788C: 7EC8B366
	v_permlane16_swap_b32_e32 v101, v103                       // 000000007890: 7ECAB367
	v_subrev_f32_dpp v70, v126, v70 quad_perm:[2,2,2,2] row_mask:0xf bank_mask:0xf// 000000007894: 068C8CFA FF00AA7E
	v_subrev_f32_dpp v71, v126, v71 quad_perm:[3,3,3,3] row_mask:0xf bank_mask:0xf// 00000000789C: 068E8EFA FF00FF7E
	v_mfma_f32_16x16x16_f16 v[204:207], v[94:95], v[124:125], v[204:207]// 0000000078A4: D3CD00CC 0732F95E
	v_permlane16_swap_b32_e32 v60, v62                         // 0000000078AC: 7E78B33E
	v_permlane16_swap_b32_e32 v61, v63                         // 0000000078B0: 7E7AB33F
	v_mfma_f32_16x16x16_f16 v[208:211], v[96:97], v[124:125], v[208:211]// 0000000078B4: D3CD00D0 0742F960
	ds_read_b64_tr_b16 a[20:21], v19 offset:61440              // 0000000078BC: DBC6F000 14000013
	ds_read_b64_tr_b16 a[22:23], v19 offset:61696              // 0000000078C4: DBC6F100 16000013
	ds_read_b64_tr_b16 a[24:25], v20                           // 0000000078CC: DBC60000 18000014
	v_mfma_f32_16x16x16_f16 v[212:215], v[98:99], v[124:125], v[212:215]// 0000000078D4: D3CD00D4 0752F962
	v_mul_f32_e32 v68, v44, v68                                // 0000000078DC: 0A88892C
	v_mul_f32_e32 v69, v45, v69                                // 0000000078E0: 0A8A8B2D
	v_mul_f32_e32 v70, v46, v70                                // 0000000078E4: 0A8C8D2E
	v_mfma_f32_16x16x16_f16 v[216:219], v[100:101], v[124:125], v[216:219]// 0000000078E8: D3CD00D8 0762F964
	ds_read_b32 v126, v16 offset:37888                         // 0000000078F0: D86C9400 7E000010
	ds_read_b64_tr_b16 a[26:27], v20 offset:256                // 0000000078F8: DBC60100 1A000014
	ds_read_b64_tr_b16 a[28:29], v20 offset:12288              // 000000007900: DBC63000 1C000014
	v_mfma_f32_16x16x16_f16 v[220:223], v[102:103], v[124:125], v[220:223]// 000000007908: D3CD00DC 0772F966
	v_mul_f32_e32 v71, v47, v71                                // 000000007910: 0A8E8F2F
	v_cvt_pk_f16_f32 v64, v68, v69                             // 000000007914: D2670040 00028B44
	v_cvt_pk_f16_f32 v65, v70, v71                             // 00000000791C: D2670041 00028F46
	s_waitcnt lgkmcnt(8)                                       // 000000007924: BF8CC87F
	v_mfma_f32_32x32x16_f16 a[112:127], v[224:227], v[60:63], a[112:127]// 000000007928: D3D58070 05C279E0
	ds_read_b64_tr_b16 a[30:31], v20 offset:12544              // 000000007930: DBC63100 1E000014
	ds_write_b64 v15, v[64:65] offset:35328                    // 000000007938: D89A8A00 0000400F
	ds_read_b64_tr_b16 a[32:33], v20 offset:24576              // 000000007940: DBC66000 20000014
	ds_read_b64_tr_b16 a[34:35], v20 offset:24832              // 000000007948: DBC66100 22000014
	v_mfma_f32_32x32x16_f16 a[128:143], v[228:231], v[60:63], a[128:143]// 000000007950: D3D58080 060279E4
	v_mul_f32_e32 v104, s48, v104                              // 000000007958: 0AD0D030
	buffer_atomic_pk_add_f16 v112, v9, s[32:35], 0 offen       // 00000000795C: E1381000 80087009
	v_mfma_f32_32x32x16_f16 a[144:159], v[232:235], v[60:63], a[144:159]// 000000007964: D3D58090 064279E8
	ds_read_b64_tr_b16 a[36:37], v20 offset:36864              // 00000000796C: DBC69000 24000014
	ds_read_b64_tr_b16 a[38:39], v20 offset:37120              // 000000007974: DBC69100 26000014
	ds_read_b64_tr_b16 a[40:41], v20 offset:49152              // 00000000797C: DBC6C000 28000014
	ds_read_b64_tr_b16 a[42:43], v20 offset:49408              // 000000007984: DBC6C100 2A000014
	ds_read_b64_tr_b16 a[44:45], v20 offset:61440              // 00000000798C: DBC6F000 2C000014
	ds_read_b64_tr_b16 a[46:47], v20 offset:61696              // 000000007994: DBC6F100 2E000014
	v_mfma_f32_32x32x16_f16 a[160:175], v[236:239], v[60:63], a[160:175]// 00000000799C: D3D580A0 068279EC
	.long 0x7fc0b3e2                                           // 0000000079A4: 7FC0B3E2
	.long 0x7fc2b3e3                                           // 0000000079A8: 7FC2B3E3
	s_waitcnt lgkmcnt(8)                                       // 0000000079AC: BF8CC87F
	s_barrier                                                  // 0000000079B0: BF8A0000
	v_mfma_f32_32x32x16_f16 a[176:191], v[240:243], v[60:63], a[176:191]// 0000000079B4: D3D580B0 06C279F0
	ds_read_b64_tr_b16 v[36:37], v14 offset:30720              // 0000000079BC: D9C67800 2400000E
	ds_read_b64_tr_b16 v[38:39], v14 offset:30752              // 0000000079C4: D9C67820 2600000E
	ds_read_b64_tr_b16 v[40:41], v14 offset:31872              // 0000000079CC: D9C67C80 2800000E
	ds_read_b64_tr_b16 v[42:43], v14 offset:31904              // 0000000079D4: D9C67CA0 2A00000E
	ds_read_b64_tr_b16 v[44:45], v14 offset:33024              // 0000000079DC: D9C68100 2C00000E
	ds_read_b64_tr_b16 v[46:47], v14 offset:33056              // 0000000079E4: D9C68120 2E00000E
	v_mfma_f32_32x32x16_f16 a[192:207], v[244:247], v[60:63], a[192:207]// 0000000079EC: D3D580C0 070279F4
	.long 0x7fc8b3e6                                           // 0000000079F4: 7FC8B3E6
	.long 0x7fcab3e7                                           // 0000000079F8: 7FCAB3E7
	v_mov_b32_dpp v107, v104 quad_perm:[3,3,3,3] row_mask:0xf bank_mask:0xf// 0000000079FC: 7ED602FA FF00FF68
	v_mov_b32_dpp v106, v104 quad_perm:[2,2,2,2] row_mask:0xf bank_mask:0xf// 000000007A04: 7ED402FA FF00AA68
	v_mfma_f32_16x16x16_f16 a[208:211], v[224:225], v[64:65], a[208:211]// 000000007A0C: D3CD80D0 074281E0
	ds_read_b64_tr_b16 v[48:49], v14 offset:34176              // 000000007A14: D9C68580 3000000E
	ds_read_b64_tr_b16 v[50:51], v14 offset:34208              // 000000007A1C: D9C685A0 3200000E
	ds_read_b64_tr_b16 v[52:53], v14 offset:35328              // 000000007A24: D9C68A00 3400000E
	v_mfma_f32_16x16x16_f16 a[212:215], v[226:227], v[64:65], a[212:215]// 000000007A2C: D3CD80D4 075281E2
	.long 0x7fd0b3ea                                           // 000000007A34: 7FD0B3EA
	.long 0x7fd2b3eb                                           // 000000007A38: 7FD2B3EB
	v_mfma_f32_16x16x16_f16 a[216:219], v[228:229], v[64:65], a[216:219]// 000000007A3C: D3CD80D8 076281E4
	ds_read_b64_tr_b16 v[54:55], v14 offset:35360              // 000000007A44: D9C68A20 3600000E
	ds_read_b64_tr_b16 v[56:57], v14 offset:36480              // 000000007A4C: D9C68E80 3800000E
	ds_read_b64_tr_b16 v[58:59], v14 offset:36512              // 000000007A54: D9C68EA0 3A00000E
	v_mfma_f32_16x16x16_f16 a[220:223], v[230:231], v[64:65], a[220:223]// 000000007A5C: D3CD80DC 077281E6
	v_permlane16_swap_b32_e32 v236, v238                       // 000000007A64: 7FD8B3EE
	v_permlane16_swap_b32_e32 v237, v239                       // 000000007A68: 7FDAB3EF
	v_mfma_f32_16x16x16_f16 a[224:227], v[232:233], v[64:65], a[224:227]// 000000007A6C: D3CD80E0 078281E8
	ds_read_b64_tr_b16 a[48:49], v21                           // 000000007A74: DBC60000 30000015
	ds_read_b64_tr_b16 a[50:51], v21 offset:256                // 000000007A7C: DBC60100 32000015
	ds_read_b64_tr_b16 a[52:53], v21 offset:12288              // 000000007A84: DBC63000 34000015
	v_mfma_f32_16x16x16_f16 a[228:231], v[234:235], v[64:65], a[228:231]// 000000007A8C: D3CD80E4 079281EA
	v_permlane16_swap_b32_e32 v240, v242                       // 000000007A94: 7FE0B3F2
	v_permlane16_swap_b32_e32 v241, v243                       // 000000007A98: 7FE2B3F3
	v_mfma_f32_16x16x16_f16 a[232:235], v[236:237], v[64:65], a[232:235]// 000000007A9C: D3CD80E8 07A281EC
	ds_read_b64_tr_b16 a[54:55], v21 offset:12544              // 000000007AA4: DBC63100 36000015
	ds_read_b64_tr_b16 a[56:57], v21 offset:24576              // 000000007AAC: DBC66000 38000015
	ds_read_b64_tr_b16 a[58:59], v21 offset:24832              // 000000007AB4: DBC66100 3A000015
	v_mfma_f32_16x16x16_f16 a[236:239], v[238:239], v[64:65], a[236:239]// 000000007ABC: D3CD80EC 07B281EE
	v_permlane16_swap_b32_e32 v244, v246                       // 000000007AC4: 7FE8B3F6
	v_permlane16_swap_b32_e32 v245, v247                       // 000000007AC8: 7FEAB3F7
	v_mfma_f32_16x16x16_f16 a[240:243], v[240:241], v[64:65], a[240:243]// 000000007ACC: D3CD80F0 07C281F0
	ds_read_b64_tr_b16 a[60:61], v21 offset:36864              // 000000007AD4: DBC69000 3C000015
	ds_read_b64_tr_b16 a[62:63], v21 offset:37120              // 000000007ADC: DBC69100 3E000015
	ds_read_b64_tr_b16 v[248:249], v21 offset:49152            // 000000007AE4: D9C6C000 F8000015
	v_mfma_f32_16x16x16_f16 a[244:247], v[242:243], v[64:65], a[244:247]// 000000007AEC: D3CD80F4 07D281F2
	v_mov_b32_dpp v105, v104 quad_perm:[1,1,1,1] row_mask:0xf bank_mask:0xf// 000000007AF4: 7ED202FA FF005568
	buffer_atomic_pk_add_f16 v113, v9, s[32:35], 0 offen offset:768// 000000007AFC: E1381300 80087109
	v_mfma_f32_16x16x16_f16 a[248:251], v[244:245], v[64:65], a[248:251]// 000000007B04: D3CD80F8 07E281F4
	ds_read_b64_tr_b16 v[250:251], v21 offset:49408            // 000000007B0C: D9C6C100 FA000015
	ds_read_b64_tr_b16 v[252:253], v21 offset:61440            // 000000007B14: D9C6F000 FC000015
	ds_read_b64_tr_b16 v[254:255], v21 offset:61696            // 000000007B1C: D9C6F100 FE000015
	v_mfma_f32_16x16x16_f16 a[252:255], v[246:247], v[64:65], a[252:255]// 000000007B24: D3CD80FC 07F281F6
	v_mov_b32_dpp v104, v104 quad_perm:[0,0,0,0] row_mask:0xf bank_mask:0xf// 000000007B2C: 7ED002FA FF000068
	s_waitcnt vmcnt(6) lgkmcnt(6)                              // 000000007B34: BF8C0676
	s_barrier                                                  // 000000007B38: BF8A0000
	v_mfma_f32_16x16x32_f16 v[108:111], a[0:3], v[36:39], 0    // 000000007B3C: D3D4006C 0A024900
	ds_read_b128 v[224:227], v12                               // 000000007B44: D9FE0000 E000000C
	ds_read_b128 v[228:231], v12 offset:1024                   // 000000007B4C: D9FE0400 E400000C
	v_mfma_f32_16x16x32_f16 v[108:111], a[4:7], v[40:43], v[108:111]// 000000007B54: D3D4006C 0DB25104
	s_mov_b32 m0, s87                                          // 000000007B5C: BEFC0057
	buffer_load_dwordx4 v1, s[8:11], 0 idxen lds               // 000000007B60: E05D2000 80020001
	v_mfma_f32_16x16x32_f16 v[108:111], a[8:11], v[44:47], v[108:111]// 000000007B68: D3D4006C 0DB25908
	ds_read_b128 v[232:235], v12 offset:2048                   // 000000007B70: D9FE0800 E800000C
	ds_read_b128 v[236:239], v12 offset:3072                   // 000000007B78: D9FE0C00 EC00000C
	v_mfma_f32_16x16x32_f16 v[108:111], a[12:15], v[48:51], v[108:111]// 000000007B80: D3D4006C 0DB2610C
	s_mov_b32 m0, s88                                          // 000000007B88: BEFC0058
	buffer_load_dword v2, s[8:11], 0 idxen lds                 // 000000007B8C: E0512000 80020002
	v_mfma_f32_16x16x32_f16 v[108:111], a[16:19], v[52:55], v[108:111]// 000000007B94: D3D4006C 0DB26910
	ds_read_b128 v[240:243], v12 offset:4096                   // 000000007B9C: D9FE1000 F000000C
	ds_read_b128 v[244:247], v12 offset:5120                   // 000000007BA4: D9FE1400 F400000C
	v_mfma_f32_16x16x32_f16 v[108:111], a[20:23], v[56:59], v[108:111]// 000000007BAC: D3D4006C 0DB27114
	s_mov_b32 m0, s89                                          // 000000007BB4: BEFC0059
	buffer_load_dword v3, s[8:11], 0 idxen lds                 // 000000007BB8: E0512000 80020003
	v_mfma_f32_16x16x32_f16 v[112:115], a[24:27], v[36:39], 0  // 000000007BC0: D3D40070 0A024918
	ds_read_b128 a[0:3], v17                                   // 000000007BC8: DBFE0000 00000011
	ds_read_b128 a[4:7], v17 offset:1024                       // 000000007BD0: DBFE0400 04000011
	v_mfma_f32_16x16x32_f16 v[112:115], a[28:31], v[40:43], v[112:115]// 000000007BD8: D3D40070 0DC2511C
	s_mov_b32 m0, s92                                          // 000000007BE0: BEFC005C
	buffer_load_dwordx4 v4, s[20:23], 0 idxen lds              // 000000007BE4: E05D2000 80050004
	v_mfma_f32_16x16x32_f16 v[112:115], a[32:35], v[44:47], v[112:115]// 000000007BEC: D3D40070 0DC25920
	ds_read_b128 a[8:11], v17 offset:2048                      // 000000007BF4: DBFE0800 08000011
	ds_read_b128 a[12:15], v17 offset:3072                     // 000000007BFC: DBFE0C00 0C000011
	v_mfma_f32_16x16x32_f16 v[112:115], a[36:39], v[48:51], v[112:115]// 000000007C04: D3D40070 0DC26124
	v_mul_f32_e32 v108, s47, v108                              // 000000007C0C: 0AD8D82F
	v_mul_f32_e32 v109, s47, v109                              // 000000007C10: 0ADADA2F
	s_mov_b32 m0, s80                                          // 000000007C14: BEFC0050
	buffer_load_dword v11, s[24:27], 0 idxen lds               // 000000007C18: E0512000 8006000B
	v_mfma_f32_16x16x32_f16 v[112:115], a[40:43], v[52:55], v[112:115]// 000000007C20: D3D40070 0DC26928
	ds_read_b128 a[16:19], v17 offset:4096                     // 000000007C28: DBFE1000 10000011
	ds_read_b128 a[20:23], v17 offset:5120                     // 000000007C30: DBFE1400 14000011
	v_mfma_f32_16x16x32_f16 v[112:115], a[44:47], v[56:59], v[112:115]// 000000007C38: D3D40070 0DC2712C
	s_add_u32 s60, 64, s59                                     // 000000007C40: 803C3BC0
	s_cmp_lt_u32 s60, s58                                      // 000000007C44: BF0A3A3C
	s_cselect_b32 s68, s68, 0                                  // 000000007C48: 85448044
	s_cselect_b32 s101, s101, 0                                // 000000007C4C: 85658065
	s_cselect_b32 s69, s69, 0                                  // 000000007C50: 85458045
	v_mfma_f32_16x16x32_f16 v[116:119], a[48:51], v[36:39], 0  // 000000007C54: D3D40074 0A024930
	ds_read_b128 a[24:27], v17 offset:24576                    // 000000007C5C: DBFE6000 18000011
	ds_read_b128 a[28:31], v17 offset:25600                    // 000000007C64: DBFE6400 1C000011
	v_mfma_f32_16x16x32_f16 v[116:119], a[52:55], v[40:43], v[116:119]// 000000007C6C: D3D40074 0DD25134
	v_add_u32_e32 v1, s68, v1                                  // 000000007C74: 68020244
	v_add_u32_e32 v2, s68, v2                                  // 000000007C78: 68040444
	v_add_u32_e32 v3, s68, v3                                  // 000000007C7C: 68060644
	v_add_u32_e32 v4, s101, v4                                 // 000000007C80: 68080865
	v_add_u32_e32 v11, s69, v11                                // 000000007C84: 68161645
	s_waitcnt lgkmcnt(14)                                      // 000000007C88: BF8CCE7F
	v_mfma_f32_16x16x32_f16 v[116:119], a[56:59], v[44:47], v[116:119]// 000000007C8C: D3D40074 0DD25938
	ds_read_b128 a[32:35], v17 offset:26624                    // 000000007C94: DBFE6800 20000011
	ds_read_b128 a[36:39], v17 offset:27648                    // 000000007C9C: DBFE6C00 24000011
	v_mfma_f32_16x16x32_f16 v[116:119], a[60:63], v[48:51], v[116:119]// 000000007CA4: D3D40074 0DD2613C
	v_mul_f32_e32 v110, s47, v110                              // 000000007CAC: 0ADCDC2F
	v_mul_f32_e32 v111, s47, v111                              // 000000007CB0: 0ADEDE2F
	s_cmp_ge_u32 s59, s73                                      // 000000007CB4: BF09493B
	s_cselect_b32 s66, s67, s66                                // 000000007CB8: 85424243
	v_mfma_f32_16x16x32_f16 v[116:119], v[248:251], v[52:55], v[116:119]// 000000007CBC: D3D40074 05D269F8
	ds_read_b128 a[40:43], v17 offset:28672                    // 000000007CC4: DBFE7000 28000011
	ds_read_b128 a[44:47], v17 offset:29696                    // 000000007CCC: DBFE7400 2C000011
	v_mfma_f32_16x16x32_f16 v[116:119], v[252:255], v[56:59], v[116:119]// 000000007CD4: D3D40074 05D271FC
	s_addk_i32 s59, 0x10                                       // 000000007CDC: B73B0010
	v_mul_f32_e32 v112, s47, v112                              // 000000007CE0: 0AE0E02F
	v_mul_f32_e32 v113, s47, v113                              // 000000007CE4: 0AE2E22F
	s_cmp_lt_i32 s59, s58                                      // 000000007CE8: BF043A3B
	s_cbranch_scc0 label_0F4C                                  // 000000007CEC: BF840001
	s_branch label_0639                                        // 000000007CF0: BF82F6FC

0000000000007cf4 <label_0F4C>:
	s_nop 0                                                    // 000000007CF4: BF800000
	s_nop 0                                                    // 000000007CF8: BF800000
	s_branch label_1862                                        // 000000007CFC: BF820904

0000000000007d00 <label_0F4F>:
	s_waitcnt lgkmcnt(2)                                       // 000000007D00: BF8CC27F
	v_mfma_f32_16x16x32_f16 v[36:39], v[224:227], a[0:3], 0    // 000000007D04: D3D40024 120201E0
	v_add_u32_e32 v7, s66, v7                                  // 000000007D0C: 680E0E42
	v_add_u32_e32 v8, s66, v8                                  // 000000007D10: 68101042
	v_add_u32_e32 v9, s66, v9                                  // 000000007D14: 68121242
	v_mfma_f32_16x16x32_f16 v[36:39], v[228:231], a[4:7], v[36:39]// 000000007D18: D3D40024 149209E4
	ds_read_b128 a[48:51], v17 offset:49152                    // 000000007D20: DBFEC000 30000011
	ds_read_b128 a[52:55], v17 offset:50176                    // 000000007D28: DBFEC400 34000011
	v_mfma_f32_16x16x32_f16 v[36:39], v[232:235], a[8:11], v[36:39]// 000000007D30: D3D40024 149211E8
	v_cvt_pk_f16_f32 v108, v108, v109                          // 000000007D38: D267006C 0002DB6C
	v_cvt_pk_f16_f32 v109, v110, v111                          // 000000007D40: D267006D 0002DF6E
	v_mfma_f32_16x16x32_f16 v[36:39], v[236:239], a[12:15], v[36:39]// 000000007D48: D3D40024 149219EC
	ds_read_b128 a[56:59], v17 offset:51200                    // 000000007D50: DBFEC800 38000011
	ds_read_b128 a[60:63], v17 offset:52224                    // 000000007D58: DBFECC00 3C000011
	v_mfma_f32_16x16x32_f16 v[36:39], v[240:243], a[16:19], v[36:39]// 000000007D60: D3D40024 149221F0
	v_mul_f32_e32 v114, s47, v114                              // 000000007D68: 0AE4E42F
	v_mul_f32_e32 v115, s47, v115                              // 000000007D6C: 0AE6E62F
	v_mfma_f32_16x16x32_f16 v[36:39], v[244:247], a[20:23], v[36:39]// 000000007D70: D3D40024 149229F4
	ds_read_b128 v[248:251], v17 offset:53248                  // 000000007D78: D9FED000 F8000011
	ds_read_b128 v[252:255], v17 offset:54272                  // 000000007D80: D9FED400 FC000011
	v_mfma_f32_16x16x32_f16 v[40:43], v[224:227], a[24:27], 0  // 000000007D88: D3D40028 120231E0
	v_mul_f32_e32 v116, s47, v116                              // 000000007D90: 0AE8E82F
	v_mul_f32_e32 v117, s47, v117                              // 000000007D94: 0AEAEA2F
	v_mfma_f32_16x16x32_f16 v[40:43], v[228:231], a[28:31], v[40:43]// 000000007D98: D3D40028 14A239E4
	ds_read_b128 v[72:75], v12 offset:18432                    // 000000007DA0: D9FE4800 4800000C
	ds_read_b128 v[76:79], v12 offset:19456                    // 000000007DA8: D9FE4C00 4C00000C
	v_mfma_f32_16x16x32_f16 v[40:43], v[232:235], a[32:35], v[40:43]// 000000007DB0: D3D40028 14A241E8
	v_mul_f32_e32 v118, s47, v118                              // 000000007DB8: 0AECEC2F
	v_mul_f32_e32 v119, s47, v119                              // 000000007DBC: 0AEEEE2F
	v_cvt_pk_f16_f32 v110, v112, v113                          // 000000007DC0: D267006E 0002E370
	v_cvt_pk_f16_f32 v111, v114, v115                          // 000000007DC8: D267006F 0002E772
	v_mfma_f32_16x16x32_f16 v[40:43], v[236:239], a[36:39], v[40:43]// 000000007DD0: D3D40028 14A249EC
	ds_read_b128 v[80:83], v12 offset:20480                    // 000000007DD8: D9FE5000 5000000C
	ds_read_b128 v[84:87], v12 offset:21504                    // 000000007DE0: D9FE5400 5400000C
	s_waitcnt lgkmcnt(10)                                      // 000000007DE8: BF8CCA7F
	v_mfma_f32_16x16x32_f16 v[40:43], v[240:243], a[40:43], v[40:43]// 000000007DEC: D3D40028 14A251F0
	v_fma_f32 v36, v36, s57, -v104                             // 000000007DF4: D1CB0024 85A07324
	v_fma_f32 v37, v37, s57, -v105                             // 000000007DFC: D1CB0025 85A47325
	v_mfma_f32_16x16x32_f16 v[40:43], v[244:247], a[44:47], v[40:43]// 000000007E04: D3D40028 14A259F4
	ds_read_b64_tr_b16 v[88:89], v13 offset:18432              // 000000007E0C: D9C64800 5800000D
	ds_read_b64_tr_b16 v[90:91], v13 offset:18688              // 000000007E14: D9C64900 5A00000D
	s_waitcnt lgkmcnt(10)                                      // 000000007E1C: BF8CCA7F
	v_mfma_f32_16x16x32_f16 v[44:47], v[224:227], a[48:51], 0  // 000000007E20: D3D4002C 120261E0
	v_fma_f32 v38, v38, s57, -v106                             // 000000007E28: D1CB0026 85A87326
	v_fma_f32 v39, v39, s57, -v107                             // 000000007E30: D1CB0027 85AC7327
	v_mfma_f32_16x16x32_f16 v[44:47], v[228:231], a[52:55], v[44:47]// 000000007E38: D3D4002C 14B269E4
	ds_read_b64_tr_b16 v[92:93], v13 offset:19456              // 000000007E40: D9C64C00 5C00000D
	ds_read_b64_tr_b16 v[94:95], v13 offset:19712              // 000000007E48: D9C64D00 5E00000D
	s_waitcnt lgkmcnt(10)                                      // 000000007E50: BF8CCA7F
	v_mfma_f32_16x16x32_f16 v[44:47], v[232:235], a[56:59], v[44:47]// 000000007E54: D3D4002C 14B271E8
	v_fma_f32 v40, v40, s57, -v104                             // 000000007E5C: D1CB0028 85A07328
	v_fma_f32 v41, v41, s57, -v105                             // 000000007E64: D1CB0029 85A47329
	v_cvt_pk_f16_f32 v112, v116, v117                          // 000000007E6C: D2670070 0002EB74
	v_cvt_pk_f16_f32 v113, v118, v119                          // 000000007E74: D2670071 0002EF76
	v_mfma_f32_16x16x32_f16 v[44:47], v[236:239], a[60:63], v[44:47]// 000000007E7C: D3D4002C 14B279EC
	ds_read_b64_tr_b16 v[96:97], v13 offset:20480              // 000000007E84: D9C65000 6000000D
	ds_read_b64_tr_b16 v[98:99], v13 offset:20736              // 000000007E8C: D9C65100 6200000D
	s_waitcnt lgkmcnt(10)                                      // 000000007E94: BF8CCA7F
	v_mfma_f32_16x16x32_f16 v[44:47], v[240:243], v[248:251], v[44:47]// 000000007E98: D3D4002C 04B3F1F0
	v_fma_f32 v42, v42, s57, -v106                             // 000000007EA0: D1CB002A 85A8732A
	v_fma_f32 v43, v43, s57, -v107                             // 000000007EA8: D1CB002B 85AC732B
	v_mfma_f32_16x16x32_f16 v[44:47], v[244:247], v[252:255], v[44:47]// 000000007EB0: D3D4002C 04B3F9F4
	ds_read_b64_tr_b16 v[100:101], v13 offset:21504            // 000000007EB8: D9C65400 6400000D
	ds_read_b64_tr_b16 v[102:103], v13 offset:21760            // 000000007EC0: D9C65500 6600000D
	s_cmp_lt_i32 s74, 12                                       // 000000007EC8: BF048C4A
	s_cbranch_scc0 label_1038                                  // 000000007ECC: BF840075
	s_mov_b32 s60, 0xffe0fffe                                  // 000000007ED0: BEBC00FF FFE0FFFE
	s_mov_b32 s61, 0xe000fe00                                  // 000000007ED8: BEBD00FF E000FE00
	s_nop 0                                                    // 000000007EE0: BF800000
	s_add_u32 s62, 0, s46                                      // 000000007EE4: 803E2E80
	s_cmp_lt_i32 s74, s62                                      // 000000007EE8: BF043E4A
	s_cbranch_scc1 label_0FF3                                  // 000000007EEC: BF850028
	s_cmp_eq_i32 s74, s62                                      // 000000007EF0: BF003E4A
	s_cbranch_scc1 label_0FD8                                  // 000000007EF4: BF85000B
	s_add_u32 s62, 4, s46                                      // 000000007EF8: 803E2E84
	s_cmp_lt_i32 s74, s62                                      // 000000007EFC: BF043E4A
	s_cbranch_scc1 label_1013                                  // 000000007F00: BF850043
	s_cmp_eq_i32 s74, s62                                      // 000000007F04: BF003E4A
	s_cbranch_scc1 label_0FF8                                  // 000000007F08: BF850026
	s_add_u32 s62, 8, s46                                      // 000000007F0C: 803E2E88
	s_cmp_lt_i32 s74, s62                                      // 000000007F10: BF043E4A
	s_cbranch_scc1 label_1033                                  // 000000007F14: BF85005E
	s_cmp_eq_i32 s74, s62                                      // 000000007F18: BF003E4A
	s_cbranch_scc1 label_1018                                  // 000000007F1C: BF850041
	s_branch label_1038                                        // 000000007F20: BF820060

0000000000007f24 <label_0FD8>:
	v_cndmask_b32_e64 v36, v36, v127, s[60:61]                 // 000000007F24: D1000024 00F2FF24
	s_lshl_b32 s60, s60, 1                                     // 000000007F2C: 8E3C813C
	s_lshl_b32 s61, s61, 1                                     // 000000007F30: 8E3D813D
	s_and_b32 s60, 0xfffeffff, s60                             // 000000007F34: 863C3CFF FFFEFFFF
	s_and_b32 s61, 0xfffeffff, s61                             // 000000007F3C: 863D3DFF FFFEFFFF
	v_cndmask_b32_e64 v37, v37, v127, s[60:61]                 // 000000007F44: D1000025 00F2FF25
	s_lshl_b32 s60, s60, 1                                     // 000000007F4C: 8E3C813C
	s_lshl_b32 s61, s61, 1                                     // 000000007F50: 8E3D813D
	s_and_b32 s60, 0xfffeffff, s60                             // 000000007F54: 863C3CFF FFFEFFFF
	s_and_b32 s61, 0xfffeffff, s61                             // 000000007F5C: 863D3DFF FFFEFFFF
	v_cndmask_b32_e64 v38, v38, v127, s[60:61]                 // 000000007F64: D1000026 00F2FF26
	s_lshl_b32 s60, s60, 1                                     // 000000007F6C: 8E3C813C
	s_lshl_b32 s61, s61, 1                                     // 000000007F70: 8E3D813D
	s_and_b32 s60, 0xfffeffff, s60                             // 000000007F74: 863C3CFF FFFEFFFF
	s_and_b32 s61, 0xfffeffff, s61                             // 000000007F7C: 863D3DFF FFFEFFFF
	v_cndmask_b32_e64 v39, v39, v127, s[60:61]                 // 000000007F84: D1000027 00F2FF27
	s_branch label_1013                                        // 000000007F8C: BF820020

0000000000007f90 <label_0FF3>:
	v_mov_b32_e32 v36, v127                                    // 000000007F90: 7E48037F
	v_mov_b32_e32 v37, v127                                    // 000000007F94: 7E4A037F
	v_mov_b32_e32 v38, v127                                    // 000000007F98: 7E4C037F
	v_mov_b32_e32 v39, v127                                    // 000000007F9C: 7E4E037F
	s_branch label_1013                                        // 000000007FA0: BF82001B

0000000000007fa4 <label_0FF8>:
	v_cndmask_b32_e64 v40, v40, v127, s[60:61]                 // 000000007FA4: D1000028 00F2FF28
	s_lshl_b32 s60, s60, 1                                     // 000000007FAC: 8E3C813C
	s_lshl_b32 s61, s61, 1                                     // 000000007FB0: 8E3D813D
	s_and_b32 s60, 0xfffeffff, s60                             // 000000007FB4: 863C3CFF FFFEFFFF
	s_and_b32 s61, 0xfffeffff, s61                             // 000000007FBC: 863D3DFF FFFEFFFF
	v_cndmask_b32_e64 v41, v41, v127, s[60:61]                 // 000000007FC4: D1000029 00F2FF29
	s_lshl_b32 s60, s60, 1                                     // 000000007FCC: 8E3C813C
	s_lshl_b32 s61, s61, 1                                     // 000000007FD0: 8E3D813D
	s_and_b32 s60, 0xfffeffff, s60                             // 000000007FD4: 863C3CFF FFFEFFFF
	s_and_b32 s61, 0xfffeffff, s61                             // 000000007FDC: 863D3DFF FFFEFFFF
	v_cndmask_b32_e64 v42, v42, v127, s[60:61]                 // 000000007FE4: D100002A 00F2FF2A
	s_lshl_b32 s60, s60, 1                                     // 000000007FEC: 8E3C813C
	s_lshl_b32 s61, s61, 1                                     // 000000007FF0: 8E3D813D
	s_and_b32 s60, 0xfffeffff, s60                             // 000000007FF4: 863C3CFF FFFEFFFF
	s_and_b32 s61, 0xfffeffff, s61                             // 000000007FFC: 863D3DFF FFFEFFFF
	v_cndmask_b32_e64 v43, v43, v127, s[60:61]                 // 000000008004: D100002B 00F2FF2B
	s_branch label_1033                                        // 00000000800C: BF820020

0000000000008010 <label_1013>:
	v_mov_b32_e32 v40, v127                                    // 000000008010: 7E50037F
	v_mov_b32_e32 v41, v127                                    // 000000008014: 7E52037F
	v_mov_b32_e32 v42, v127                                    // 000000008018: 7E54037F
	v_mov_b32_e32 v43, v127                                    // 00000000801C: 7E56037F
	s_branch label_1033                                        // 000000008020: BF82001B

0000000000008024 <label_1018>:
	v_cndmask_b32_e64 v44, v44, v127, s[60:61]                 // 000000008024: D100002C 00F2FF2C
	s_lshl_b32 s60, s60, 1                                     // 00000000802C: 8E3C813C
	s_lshl_b32 s61, s61, 1                                     // 000000008030: 8E3D813D
	s_and_b32 s60, 0xfffeffff, s60                             // 000000008034: 863C3CFF FFFEFFFF
	s_and_b32 s61, 0xfffeffff, s61                             // 00000000803C: 863D3DFF FFFEFFFF
	v_cndmask_b32_e64 v45, v45, v127, s[60:61]                 // 000000008044: D100002D 00F2FF2D
	s_lshl_b32 s60, s60, 1                                     // 00000000804C: 8E3C813C
	s_lshl_b32 s61, s61, 1                                     // 000000008050: 8E3D813D
	s_and_b32 s60, 0xfffeffff, s60                             // 000000008054: 863C3CFF FFFEFFFF
	s_and_b32 s61, 0xfffeffff, s61                             // 00000000805C: 863D3DFF FFFEFFFF
	v_cndmask_b32_e64 v46, v46, v127, s[60:61]                 // 000000008064: D100002E 00F2FF2E
	s_lshl_b32 s60, s60, 1                                     // 00000000806C: 8E3C813C
	s_lshl_b32 s61, s61, 1                                     // 000000008070: 8E3D813D
	s_and_b32 s60, 0xfffeffff, s60                             // 000000008074: 863C3CFF FFFEFFFF
	s_and_b32 s61, 0xfffeffff, s61                             // 00000000807C: 863D3DFF FFFEFFFF
	v_cndmask_b32_e64 v47, v47, v127, s[60:61]                 // 000000008084: D100002F 00F2FF2F
	s_branch label_1038                                        // 00000000808C: BF820005

0000000000008090 <label_1033>:
	v_mov_b32_e32 v44, v127                                    // 000000008090: 7E58037F
	v_mov_b32_e32 v45, v127                                    // 000000008094: 7E5A037F
	v_mov_b32_e32 v46, v127                                    // 000000008098: 7E5C037F
	v_mov_b32_e32 v47, v127                                    // 00000000809C: 7E5E037F
	s_branch label_1038                                        // 0000000080A0: BF820000

00000000000080a4 <label_1038>:
	s_cmp_lt_i32 s64, 0xc0                                     // 0000000080A4: BF04FF40 000000C0
	s_cbranch_scc0 label_108D                                  // 0000000080AC: BF84004D
	s_cmp_le_i32 s64, 64                                       // 0000000080B0: BF05C040
	s_cbranch_scc1 label_1044                                  // 0000000080B4: BF850007
	s_cmp_le_i32 s64, 0x80                                     // 0000000080B8: BF05FF40 00000080
	s_cbranch_scc1 label_105C                                  // 0000000080C0: BF850017
	s_cmp_lt_i32 s64, 0xc0                                     // 0000000080C4: BF04FF40 000000C0
	s_cbranch_scc1 label_1074                                  // 0000000080CC: BF85002C
	s_branch label_108D                                        // 0000000080D0: BF820044

00000000000080d4 <label_1044>:
	s_mov_b32 s60, 0                                           // 0000000080D4: BEBC0080
	v_and_b32_e32 v32, 15, v0                                  // 0000000080D8: 2640008F
	v_add_u32_e64 v32, v32, s60                                // 0000000080DC: D1340020 00007920
	v_mul_i32_i24_e64 v33, s46, 16                             // 0000000080E4: D1060021 0001202E
	v_add_u32_e32 v32, v32, v33                                // 0000000080EC: 68404320
	v_cmp_lt_u32_e64 s[60:61], v32, s64                        // 0000000080F0: D0C9003C 00008120
	s_nop 1                                                    // 0000000080F8: BF800001
	v_cndmask_b32_e64 v36, v127, v36, s[60:61]                 // 0000000080FC: D1000024 00F2497F
	v_cndmask_b32_e64 v37, v127, v37, s[60:61]                 // 000000008104: D1000025 00F24B7F
	v_cndmask_b32_e64 v38, v127, v38, s[60:61]                 // 00000000810C: D1000026 00F24D7F
	v_cndmask_b32_e64 v39, v127, v39, s[60:61]                 // 000000008114: D1000027 00F24F7F
	s_branch label_106F                                        // 00000000811C: BF820013

0000000000008120 <label_105C>:
	s_mov_b32 s60, 64                                          // 000000008120: BEBC00C0
	v_and_b32_e32 v32, 15, v0                                  // 000000008124: 2640008F
	v_add_u32_e64 v32, v32, s60                                // 000000008128: D1340020 00007920
	v_mul_i32_i24_e64 v33, s46, 16                             // 000000008130: D1060021 0001202E
	v_add_u32_e32 v32, v32, v33                                // 000000008138: 68404320
	v_cmp_lt_u32_e64 s[60:61], v32, s64                        // 00000000813C: D0C9003C 00008120
	s_nop 1                                                    // 000000008144: BF800001
	v_cndmask_b32_e64 v40, v127, v40, s[60:61]                 // 000000008148: D1000028 00F2517F
	v_cndmask_b32_e64 v41, v127, v41, s[60:61]                 // 000000008150: D1000029 00F2537F
	v_cndmask_b32_e64 v42, v127, v42, s[60:61]                 // 000000008158: D100002A 00F2557F
	v_cndmask_b32_e64 v43, v127, v43, s[60:61]                 // 000000008160: D100002B 00F2577F
	s_branch label_1088                                        // 000000008168: BF820019

000000000000816c <label_106F>:
	v_mov_b32_e32 v40, v127                                    // 00000000816C: 7E50037F
	v_mov_b32_e32 v41, v127                                    // 000000008170: 7E52037F
	v_mov_b32_e32 v42, v127                                    // 000000008174: 7E54037F
	v_mov_b32_e32 v43, v127                                    // 000000008178: 7E56037F
	s_branch label_1088                                        // 00000000817C: BF820014

0000000000008180 <label_1074>:
	s_mov_b32 s60, 0x80                                        // 000000008180: BEBC00FF 00000080
	v_and_b32_e32 v32, 15, v0                                  // 000000008188: 2640008F
	v_add_u32_e64 v32, v32, s60                                // 00000000818C: D1340020 00007920
	v_mul_i32_i24_e64 v33, s46, 16                             // 000000008194: D1060021 0001202E
	v_add_u32_e32 v32, v32, v33                                // 00000000819C: 68404320
	v_cmp_lt_u32_e64 s[60:61], v32, s64                        // 0000000081A0: D0C9003C 00008120
	s_nop 1                                                    // 0000000081A8: BF800001
	v_cndmask_b32_e64 v44, v127, v44, s[60:61]                 // 0000000081AC: D100002C 00F2597F
	v_cndmask_b32_e64 v45, v127, v45, s[60:61]                 // 0000000081B4: D100002D 00F25B7F
	v_cndmask_b32_e64 v46, v127, v46, s[60:61]                 // 0000000081BC: D100002E 00F25D7F
	v_cndmask_b32_e64 v47, v127, v47, s[60:61]                 // 0000000081C4: D100002F 00F25F7F
	s_branch label_108D                                        // 0000000081CC: BF820005

00000000000081d0 <label_1088>:
	v_mov_b32_e32 v44, v127                                    // 0000000081D0: 7E58037F
	v_mov_b32_e32 v45, v127                                    // 0000000081D4: 7E5A037F
	v_mov_b32_e32 v46, v127                                    // 0000000081D8: 7E5C037F
	v_mov_b32_e32 v47, v127                                    // 0000000081DC: 7E5E037F
	s_branch label_108D                                        // 0000000081E0: BF820000

00000000000081e4 <label_108D>:
	s_addk_i32 s74, 0x1                                        // 0000000081E4: B74A0001
	s_waitcnt lgkmcnt(8)                                       // 0000000081E8: BF8CC87F
	v_mfma_f32_16x16x32_f16 v[60:63], v[72:75], a[64:67], 0    // 0000000081EC: D3D4003C 12028148
	v_exp_f32_e32 v36, v36                                     // 0000000081F4: 7E484124
	v_exp_f32_e32 v37, v37                                     // 0000000081F8: 7E4A4125
	v_mfma_f32_16x16x32_f16 v[60:63], v[76:79], a[68:71], v[60:63]// 0000000081FC: D3D4003C 14F2894C
	v_exp_f32_e32 v38, v38                                     // 000000008204: 7E4C4126
	v_exp_f32_e32 v39, v39                                     // 000000008208: 7E4E4127
	v_mfma_f32_16x16x32_f16 v[60:63], v[80:83], a[72:75], v[60:63]// 00000000820C: D3D4003C 14F29150
	v_fma_f32 v44, v44, s57, -v104                             // 000000008214: D1CB002C 85A0732C
	v_fma_f32 v45, v45, s57, -v105                             // 00000000821C: D1CB002D 85A4732D
	v_exp_f32_e32 v40, v40                                     // 000000008224: 7E504128
	v_exp_f32_e32 v41, v41                                     // 000000008228: 7E524129
	buffer_atomic_pk_add_f16 v108, v7, s[32:35], 0 offen       // 00000000822C: E1381000 80086C07
	v_mfma_f32_16x16x32_f16 v[60:63], v[84:87], a[76:79], v[60:63]// 000000008234: D3D4003C 14F29954
	ds_read_b64_tr_b16 v[224:225], v13                         // 00000000823C: D9C60000 E000000D
	ds_read_b64_tr_b16 v[226:227], v13 offset:256              // 000000008244: D9C60100 E200000D
	ds_read_b64_tr_b16 v[228:229], v13 offset:1024             // 00000000824C: D9C60400 E400000D
	ds_read_b64_tr_b16 v[230:231], v13 offset:1280             // 000000008254: D9C60500 E600000D
	v_mfma_f32_16x16x32_f16 v[64:67], v[72:75], a[80:83], 0    // 00000000825C: D3D40040 1202A148
	v_fma_f32 v46, v46, s57, -v106                             // 000000008264: D1CB002E 85A8732E
	v_fma_f32 v47, v47, s57, -v107                             // 00000000826C: D1CB002F 85AC732F
	v_exp_f32_e32 v42, v42                                     // 000000008274: 7E54412A
	v_exp_f32_e32 v43, v43                                     // 000000008278: 7E56412B
	v_mfma_f32_16x16x32_f16 v[64:67], v[76:79], a[84:87], v[64:67]// 00000000827C: D3D40040 1502A94C
	ds_read_b64_tr_b16 v[232:233], v13 offset:2048             // 000000008284: D9C60800 E800000D
	ds_read_b64_tr_b16 v[234:235], v13 offset:2304             // 00000000828C: D9C60900 EA00000D
	ds_read_b64_tr_b16 v[236:237], v13 offset:3072             // 000000008294: D9C60C00 EC00000D
	ds_read_b64_tr_b16 v[238:239], v13 offset:3328             // 00000000829C: D9C60D00 EE00000D
	v_mfma_f32_16x16x32_f16 v[64:67], v[80:83], a[88:91], v[64:67]// 0000000082A4: D3D40040 1502B150
	v_exp_f32_e32 v44, v44                                     // 0000000082AC: 7E58412C
	v_exp_f32_e32 v45, v45                                     // 0000000082B0: 7E5A412D
	v_mfma_f32_16x16x32_f16 v[64:67], v[84:87], a[92:95], v[64:67]// 0000000082B4: D3D40040 1502B954
	v_cvt_pk_f16_f32 v120, v36, v37                            // 0000000082BC: D2670078 00024B24
	v_cvt_pk_f16_f32 v121, v38, v39                            // 0000000082C4: D2670079 00024F26
	v_cvt_pk_f16_f32 v122, v40, v41                            // 0000000082CC: D267007A 00025328
	v_cvt_pk_f16_f32 v123, v42, v43                            // 0000000082D4: D267007B 0002572A
	v_mfma_f32_16x16x32_f16 v[68:71], v[72:75], a[96:99], 0    // 0000000082DC: D3D40044 1202C148
	v_exp_f32_e32 v46, v46                                     // 0000000082E4: 7E5C412E
	v_exp_f32_e32 v47, v47                                     // 0000000082E8: 7E5E412F
	v_mfma_f32_16x16x32_f16 v[68:71], v[76:79], a[100:103], v[68:71]// 0000000082EC: D3D40044 1512C94C
	v_permlane16_swap_b32_e32 v120, v122                       // 0000000082F4: 7EF0B37A
	v_permlane16_swap_b32_e32 v121, v123                       // 0000000082F8: 7EF2B37B
	v_mfma_f32_16x16x32_f16 v[68:71], v[80:83], a[104:107], v[68:71]// 0000000082FC: D3D40044 1512D150
	v_cvt_pk_f16_f32 v124, v44, v45                            // 000000008304: D267007C 00025B2C
	v_cvt_pk_f16_f32 v125, v46, v47                            // 00000000830C: D267007D 00025F2E
	buffer_atomic_pk_add_f16 v109, v7, s[32:35], 0 offen offset:768// 000000008314: E1381300 80086D07
	v_mfma_f32_16x16x32_f16 v[68:71], v[84:87], a[108:111], v[68:71]// 00000000831C: D3D40044 1512D954
	ds_read_b64_tr_b16 v[240:241], v13 offset:4096             // 000000008324: D9C61000 F000000D
	ds_read_b64_tr_b16 v[242:243], v13 offset:4352             // 00000000832C: D9C61100 F200000D
	ds_read_b64_tr_b16 v[244:245], v13 offset:5120             // 000000008334: D9C61400 F400000D
	ds_read_b64_tr_b16 v[246:247], v13 offset:5376             // 00000000833C: D9C61500 F600000D
	s_waitcnt lgkmcnt(12)                                      // 000000008344: BF8CCC7F
	v_mfma_f32_32x32x16_f16 v[128:143], v[88:91], v[120:123], v[128:143]// 000000008348: D3D50080 0602F158
	v_subrev_f32_dpp v60, v126, v60 quad_perm:[0,0,0,0] row_mask:0xf bank_mask:0xf// 000000008350: 067878FA FF00007E
	v_subrev_f32_dpp v61, v126, v61 quad_perm:[1,1,1,1] row_mask:0xf bank_mask:0xf// 000000008358: 067A7AFA FF00557E
	v_subrev_f32_dpp v62, v126, v62 quad_perm:[2,2,2,2] row_mask:0xf bank_mask:0xf// 000000008360: 067C7CFA FF00AA7E
	v_subrev_f32_dpp v63, v126, v63 quad_perm:[3,3,3,3] row_mask:0xf bank_mask:0xf// 000000008368: 067E7EFA FF00FF7E
	v_subrev_f32_dpp v64, v126, v64 quad_perm:[0,0,0,0] row_mask:0xf bank_mask:0xf// 000000008370: 068080FA FF00007E
	v_subrev_f32_dpp v65, v126, v65 quad_perm:[1,1,1,1] row_mask:0xf bank_mask:0xf// 000000008378: 068282FA FF00557E
	v_subrev_f32_dpp v66, v126, v66 quad_perm:[2,2,2,2] row_mask:0xf bank_mask:0xf// 000000008380: 068484FA FF00AA7E
	v_subrev_f32_dpp v67, v126, v67 quad_perm:[3,3,3,3] row_mask:0xf bank_mask:0xf// 000000008388: 068686FA FF00FF7E
	v_mul_f32_e32 v60, v36, v60                                // 000000008390: 0A787924
	v_mul_f32_e32 v61, v37, v61                                // 000000008394: 0A7A7B25
	v_mul_f32_e32 v62, v38, v62                                // 000000008398: 0A7C7D26
	v_mul_f32_e32 v63, v39, v63                                // 00000000839C: 0A7E7F27
	v_mfma_f32_32x32x16_f16 v[144:159], v[92:95], v[120:123], v[144:159]// 0000000083A0: D3D50090 0642F15C
	ds_read_b64_tr_b16 a[0:1], v19                             // 0000000083A8: DBC60000 00000013
	ds_read_b64_tr_b16 a[2:3], v19 offset:256                  // 0000000083B0: DBC60100 02000013
	ds_read_b64_tr_b16 a[4:5], v19 offset:12288                // 0000000083B8: DBC63000 04000013
	ds_read_b64_tr_b16 a[6:7], v19 offset:12544                // 0000000083C0: DBC63100 06000013
	ds_read_b64_tr_b16 a[8:9], v19 offset:24576                // 0000000083C8: DBC66000 08000013
	buffer_atomic_pk_add_f16 v110, v8, s[32:35], 0 offen       // 0000000083D0: E1381000 80086E08
	v_mfma_f32_32x32x16_f16 v[160:175], v[96:99], v[120:123], v[160:175]// 0000000083D8: D3D500A0 0682F160
	v_mul_f32_e32 v64, v40, v64                                // 0000000083E0: 0A808128
	v_mul_f32_e32 v65, v41, v65                                // 0000000083E4: 0A828329
	v_mul_f32_e32 v66, v42, v66                                // 0000000083E8: 0A84852A
	v_mul_f32_e32 v67, v43, v67                                // 0000000083EC: 0A86872B
	v_permlane16_swap_b32_e32 v88, v90                         // 0000000083F0: 7EB0B35A
	v_permlane16_swap_b32_e32 v89, v91                         // 0000000083F4: 7EB2B35B
	v_cvt_pk_f16_f32 v60, v60, v61                             // 0000000083F8: D267003C 00027B3C
	v_cvt_pk_f16_f32 v61, v62, v63                             // 000000008400: D267003D 00027F3E
	v_cvt_pk_f16_f32 v62, v64, v65                             // 000000008408: D267003E 00028340
	v_cvt_pk_f16_f32 v63, v66, v67                             // 000000008410: D267003F 00028742
	v_permlane16_swap_b32_e32 v92, v94                         // 000000008418: 7EB8B35E
	v_permlane16_swap_b32_e32 v93, v95                         // 00000000841C: 7EBAB35F
	v_mfma_f32_32x32x16_f16 v[176:191], v[100:103], v[120:123], v[176:191]// 000000008420: D3D500B0 06C2F164
	ds_read_b64_tr_b16 a[10:11], v19 offset:24832              // 000000008428: DBC66100 0A000013
	ds_read_b64_tr_b16 a[12:13], v19 offset:36864              // 000000008430: DBC69000 0C000013
	ds_read_b64_tr_b16 a[14:15], v19 offset:37120              // 000000008438: DBC69100 0E000013
	ds_read_b64_tr_b16 a[16:17], v19 offset:49152              // 000000008440: DBC6C000 10000013
	ds_read_b64_tr_b16 a[18:19], v19 offset:49408              // 000000008448: DBC6C100 12000013
	ds_read_b32 v104, v16 offset:38144                         // 000000008450: D86C9500 68000010
	v_mfma_f32_16x16x16_f16 v[192:195], v[88:89], v[124:125], v[192:195]// 000000008458: D3CD00C0 0702F958
	v_permlane16_swap_b32_e32 v96, v98                         // 000000008460: 7EC0B362
	v_permlane16_swap_b32_e32 v97, v99                         // 000000008464: 7EC2B363
	v_subrev_f32_dpp v68, v126, v68 quad_perm:[0,0,0,0] row_mask:0xf bank_mask:0xf// 000000008468: 068888FA FF00007E
	v_subrev_f32_dpp v69, v126, v69 quad_perm:[1,1,1,1] row_mask:0xf bank_mask:0xf// 000000008470: 068A8AFA FF00557E
	v_mfma_f32_16x16x16_f16 v[196:199], v[90:91], v[124:125], v[196:199]// 000000008478: D3CD00C4 0712F95A
	buffer_atomic_pk_add_f16 v111, v8, s[32:35], 0 offen offset:768// 000000008480: E1381300 80086F08
	ds_write_b64 v15, v[60:61] offset:30720                    // 000000008488: D89A7800 00003C0F
	ds_write_b64 v15, v[62:63] offset:33024                    // 000000008490: D89A8100 00003E0F
	v_mfma_f32_16x16x16_f16 v[200:203], v[92:93], v[124:125], v[200:203]// 000000008498: D3CD00C8 0722F95C
	v_permlane16_swap_b32_e32 v100, v102                       // 0000000084A0: 7EC8B366
	v_permlane16_swap_b32_e32 v101, v103                       // 0000000084A4: 7ECAB367
	v_subrev_f32_dpp v70, v126, v70 quad_perm:[2,2,2,2] row_mask:0xf bank_mask:0xf// 0000000084A8: 068C8CFA FF00AA7E
	v_subrev_f32_dpp v71, v126, v71 quad_perm:[3,3,3,3] row_mask:0xf bank_mask:0xf// 0000000084B0: 068E8EFA FF00FF7E
	v_mfma_f32_16x16x16_f16 v[204:207], v[94:95], v[124:125], v[204:207]// 0000000084B8: D3CD00CC 0732F95E
	v_permlane16_swap_b32_e32 v60, v62                         // 0000000084C0: 7E78B33E
	v_permlane16_swap_b32_e32 v61, v63                         // 0000000084C4: 7E7AB33F
	v_mfma_f32_16x16x16_f16 v[208:211], v[96:97], v[124:125], v[208:211]// 0000000084C8: D3CD00D0 0742F960
	v_mul_f32_e32 v68, v44, v68                                // 0000000084D0: 0A88892C
	v_mul_f32_e32 v69, v45, v69                                // 0000000084D4: 0A8A8B2D
	v_mul_f32_e32 v70, v46, v70                                // 0000000084D8: 0A8C8D2E
	v_mfma_f32_16x16x16_f16 v[212:215], v[98:99], v[124:125], v[212:215]// 0000000084DC: D3CD00D4 0752F962
	ds_read_b64_tr_b16 a[20:21], v19 offset:61440              // 0000000084E4: DBC6F000 14000013
	ds_read_b64_tr_b16 a[22:23], v19 offset:61696              // 0000000084EC: DBC6F100 16000013
	ds_read_b64_tr_b16 a[24:25], v20                           // 0000000084F4: DBC60000 18000014
	v_mfma_f32_16x16x16_f16 v[216:219], v[100:101], v[124:125], v[216:219]// 0000000084FC: D3CD00D8 0762F964
	v_mul_f32_e32 v71, v47, v71                                // 000000008504: 0A8E8F2F
	v_cvt_pk_f16_f32 v64, v68, v69                             // 000000008508: D2670040 00028B44
	v_cvt_pk_f16_f32 v65, v70, v71                             // 000000008510: D2670041 00028F46
	v_mfma_f32_16x16x16_f16 v[220:223], v[102:103], v[124:125], v[220:223]// 000000008518: D3CD00DC 0772F966
	ds_read_b32 v126, v16 offset:38400                         // 000000008520: D86C9600 7E000010
	ds_read_b64_tr_b16 a[26:27], v20 offset:256                // 000000008528: DBC60100 1A000014
	ds_read_b64_tr_b16 a[28:29], v20 offset:12288              // 000000008530: DBC63000 1C000014
	s_waitcnt lgkmcnt(8)                                       // 000000008538: BF8CC87F
	v_mfma_f32_32x32x16_f16 a[112:127], v[224:227], v[60:63], a[112:127]// 00000000853C: D3D58070 05C279E0
	v_mul_f32_e32 v104, s48, v104                              // 000000008544: 0AD0D030
	buffer_atomic_pk_add_f16 v112, v9, s[32:35], 0 offen       // 000000008548: E1381000 80087009
	v_mfma_f32_32x32x16_f16 a[128:143], v[228:231], v[60:63], a[128:143]// 000000008550: D3D58080 060279E4
	ds_read_b64_tr_b16 a[30:31], v20 offset:12544              // 000000008558: DBC63100 1E000014
	ds_write_b64 v15, v[64:65] offset:35328                    // 000000008560: D89A8A00 0000400F
	ds_read_b64_tr_b16 a[32:33], v20 offset:24576              // 000000008568: DBC66000 20000014
	ds_read_b64_tr_b16 a[34:35], v20 offset:24832              // 000000008570: DBC66100 22000014
	v_mfma_f32_32x32x16_f16 a[144:159], v[232:235], v[60:63], a[144:159]// 000000008578: D3D58090 064279E8
	.long 0x7fc0b3e2                                           // 000000008580: 7FC0B3E2
	.long 0x7fc2b3e3                                           // 000000008584: 7FC2B3E3
	v_mfma_f32_32x32x16_f16 a[160:175], v[236:239], v[60:63], a[160:175]// 000000008588: D3D580A0 068279EC
	ds_read_b64_tr_b16 a[36:37], v20 offset:36864              // 000000008590: DBC69000 24000014
	ds_read_b64_tr_b16 a[38:39], v20 offset:37120              // 000000008598: DBC69100 26000014
	ds_read_b64_tr_b16 a[40:41], v20 offset:49152              // 0000000085A0: DBC6C000 28000014
	ds_read_b64_tr_b16 a[42:43], v20 offset:49408              // 0000000085A8: DBC6C100 2A000014
	ds_read_b64_tr_b16 a[44:45], v20 offset:61440              // 0000000085B0: DBC6F000 2C000014
	ds_read_b64_tr_b16 a[46:47], v20 offset:61696              // 0000000085B8: DBC6F100 2E000014
	s_waitcnt lgkmcnt(8)                                       // 0000000085C0: BF8CC87F
	s_barrier                                                  // 0000000085C4: BF8A0000
	v_mfma_f32_32x32x16_f16 a[176:191], v[240:243], v[60:63], a[176:191]// 0000000085C8: D3D580B0 06C279F0
	.long 0x7fc8b3e6                                           // 0000000085D0: 7FC8B3E6
	.long 0x7fcab3e7                                           // 0000000085D4: 7FCAB3E7
	v_mov_b32_dpp v107, v104 quad_perm:[3,3,3,3] row_mask:0xf bank_mask:0xf// 0000000085D8: 7ED602FA FF00FF68
	v_mov_b32_dpp v106, v104 quad_perm:[2,2,2,2] row_mask:0xf bank_mask:0xf// 0000000085E0: 7ED402FA FF00AA68
	v_mfma_f32_32x32x16_f16 a[192:207], v[244:247], v[60:63], a[192:207]// 0000000085E8: D3D580C0 070279F4
	ds_read_b64_tr_b16 v[36:37], v14 offset:30720              // 0000000085F0: D9C67800 2400000E
	ds_read_b64_tr_b16 v[38:39], v14 offset:30752              // 0000000085F8: D9C67820 2600000E
	ds_read_b64_tr_b16 v[40:41], v14 offset:31872              // 000000008600: D9C67C80 2800000E
	ds_read_b64_tr_b16 v[42:43], v14 offset:31904              // 000000008608: D9C67CA0 2A00000E
	ds_read_b64_tr_b16 v[44:45], v14 offset:33024              // 000000008610: D9C68100 2C00000E
	ds_read_b64_tr_b16 v[46:47], v14 offset:33056              // 000000008618: D9C68120 2E00000E
	v_mfma_f32_16x16x16_f16 a[208:211], v[224:225], v[64:65], a[208:211]// 000000008620: D3CD80D0 074281E0
	.long 0x7fd0b3ea                                           // 000000008628: 7FD0B3EA
	.long 0x7fd2b3eb                                           // 00000000862C: 7FD2B3EB
	v_mfma_f32_16x16x16_f16 a[212:215], v[226:227], v[64:65], a[212:215]// 000000008630: D3CD80D4 075281E2
	ds_read_b64_tr_b16 v[48:49], v14 offset:34176              // 000000008638: D9C68580 3000000E
	ds_read_b64_tr_b16 v[50:51], v14 offset:34208              // 000000008640: D9C685A0 3200000E
	ds_read_b64_tr_b16 v[52:53], v14 offset:35328              // 000000008648: D9C68A00 3400000E
	v_mfma_f32_16x16x16_f16 a[216:219], v[228:229], v[64:65], a[216:219]// 000000008650: D3CD80D8 076281E4
	v_permlane16_swap_b32_e32 v236, v238                       // 000000008658: 7FD8B3EE
	v_permlane16_swap_b32_e32 v237, v239                       // 00000000865C: 7FDAB3EF
	v_mfma_f32_16x16x16_f16 a[220:223], v[230:231], v[64:65], a[220:223]// 000000008660: D3CD80DC 077281E6
	ds_read_b64_tr_b16 v[54:55], v14 offset:35360              // 000000008668: D9C68A20 3600000E
	ds_read_b64_tr_b16 v[56:57], v14 offset:36480              // 000000008670: D9C68E80 3800000E
	ds_read_b64_tr_b16 v[58:59], v14 offset:36512              // 000000008678: D9C68EA0 3A00000E
	v_mfma_f32_16x16x16_f16 a[224:227], v[232:233], v[64:65], a[224:227]// 000000008680: D3CD80E0 078281E8
	v_permlane16_swap_b32_e32 v240, v242                       // 000000008688: 7FE0B3F2
	v_permlane16_swap_b32_e32 v241, v243                       // 00000000868C: 7FE2B3F3
	v_mfma_f32_16x16x16_f16 a[228:231], v[234:235], v[64:65], a[228:231]// 000000008690: D3CD80E4 079281EA
	ds_read_b64_tr_b16 a[48:49], v21                           // 000000008698: DBC60000 30000015
	ds_read_b64_tr_b16 a[50:51], v21 offset:256                // 0000000086A0: DBC60100 32000015
	ds_read_b64_tr_b16 a[52:53], v21 offset:12288              // 0000000086A8: DBC63000 34000015
	v_mfma_f32_16x16x16_f16 a[232:235], v[236:237], v[64:65], a[232:235]// 0000000086B0: D3CD80E8 07A281EC
	v_permlane16_swap_b32_e32 v244, v246                       // 0000000086B8: 7FE8B3F6
	v_permlane16_swap_b32_e32 v245, v247                       // 0000000086BC: 7FEAB3F7
	v_mfma_f32_16x16x16_f16 a[236:239], v[238:239], v[64:65], a[236:239]// 0000000086C0: D3CD80EC 07B281EE
	ds_read_b64_tr_b16 a[54:55], v21 offset:12544              // 0000000086C8: DBC63100 36000015
	ds_read_b64_tr_b16 a[56:57], v21 offset:24576              // 0000000086D0: DBC66000 38000015
	ds_read_b64_tr_b16 a[58:59], v21 offset:24832              // 0000000086D8: DBC66100 3A000015
	v_mfma_f32_16x16x16_f16 a[240:243], v[240:241], v[64:65], a[240:243]// 0000000086E0: D3CD80F0 07C281F0
	v_mov_b32_dpp v105, v104 quad_perm:[1,1,1,1] row_mask:0xf bank_mask:0xf// 0000000086E8: 7ED202FA FF005568
	buffer_atomic_pk_add_f16 v113, v9, s[32:35], 0 offen offset:768// 0000000086F0: E1381300 80087109
	v_mfma_f32_16x16x16_f16 a[244:247], v[242:243], v[64:65], a[244:247]// 0000000086F8: D3CD80F4 07D281F2
	ds_read_b64_tr_b16 a[60:61], v21 offset:36864              // 000000008700: DBC69000 3C000015
	ds_read_b64_tr_b16 a[62:63], v21 offset:37120              // 000000008708: DBC69100 3E000015
	ds_read_b64_tr_b16 v[248:249], v21 offset:49152            // 000000008710: D9C6C000 F8000015
	v_mfma_f32_16x16x16_f16 a[248:251], v[244:245], v[64:65], a[248:251]// 000000008718: D3CD80F8 07E281F4
	v_mov_b32_dpp v104, v104 quad_perm:[0,0,0,0] row_mask:0xf bank_mask:0xf// 000000008720: 7ED002FA FF000068
	v_mfma_f32_16x16x16_f16 a[252:255], v[246:247], v[64:65], a[252:255]// 000000008728: D3CD80FC 07F281F6
	ds_read_b64_tr_b16 v[250:251], v21 offset:49408            // 000000008730: D9C6C100 FA000015
	ds_read_b64_tr_b16 v[252:253], v21 offset:61440            // 000000008738: D9C6F000 FC000015
	ds_read_b64_tr_b16 v[254:255], v21 offset:61696            // 000000008740: D9C6F100 FE000015
	s_waitcnt vmcnt(6) lgkmcnt(6)                              // 000000008748: BF8C0676
	s_barrier                                                  // 00000000874C: BF8A0000
	v_mfma_f32_16x16x32_f16 v[108:111], a[0:3], v[36:39], 0    // 000000008750: D3D4006C 0A024900
	s_mov_b32 m0, s81                                          // 000000008758: BEFC0051
	buffer_load_dwordx4 v1, s[8:11], 0 idxen lds               // 00000000875C: E05D2000 80020001
	v_mfma_f32_16x16x32_f16 v[108:111], a[4:7], v[40:43], v[108:111]// 000000008764: D3D4006C 0DB25104
	ds_read_b128 v[224:227], v12 offset:6144                   // 00000000876C: D9FE1800 E000000C
	ds_read_b128 v[228:231], v12 offset:7168                   // 000000008774: D9FE1C00 E400000C
	v_mfma_f32_16x16x32_f16 v[108:111], a[8:11], v[44:47], v[108:111]// 00000000877C: D3D4006C 0DB25908
	s_mov_b32 m0, s82                                          // 000000008784: BEFC0052
	buffer_load_dword v2, s[8:11], 0 idxen lds                 // 000000008788: E0512000 80020002
	v_mfma_f32_16x16x32_f16 v[108:111], a[12:15], v[48:51], v[108:111]// 000000008790: D3D4006C 0DB2610C
	ds_read_b128 v[232:235], v12 offset:8192                   // 000000008798: D9FE2000 E800000C
	ds_read_b128 v[236:239], v12 offset:9216                   // 0000000087A0: D9FE2400 EC00000C
	v_mfma_f32_16x16x32_f16 v[108:111], a[16:19], v[52:55], v[108:111]// 0000000087A8: D3D4006C 0DB26910
	s_mov_b32 m0, s83                                          // 0000000087B0: BEFC0053
	buffer_load_dword v3, s[8:11], 0 idxen lds                 // 0000000087B4: E0512000 80020003
	v_mfma_f32_16x16x32_f16 v[108:111], a[20:23], v[56:59], v[108:111]// 0000000087BC: D3D4006C 0DB27114
	ds_read_b128 v[240:243], v12 offset:10240                  // 0000000087C4: D9FE2800 F000000C
	ds_read_b128 v[244:247], v12 offset:11264                  // 0000000087CC: D9FE2C00 F400000C
	v_mfma_f32_16x16x32_f16 v[112:115], a[24:27], v[36:39], 0  // 0000000087D4: D3D40070 0A024918
	s_mov_b32 m0, s90                                          // 0000000087DC: BEFC005A
	buffer_load_dwordx4 v4, s[20:23], 0 idxen lds              // 0000000087E0: E05D2000 80050004
	v_mfma_f32_16x16x32_f16 v[112:115], a[28:31], v[40:43], v[112:115]// 0000000087E8: D3D40070 0DC2511C
	ds_read_b128 a[0:3], v17                                   // 0000000087F0: DBFE0000 00000011
	ds_read_b128 a[4:7], v17 offset:1024                       // 0000000087F8: DBFE0400 04000011
	v_mfma_f32_16x16x32_f16 v[112:115], a[32:35], v[44:47], v[112:115]// 000000008800: D3D40070 0DC25920
	v_mul_f32_e32 v108, s47, v108                              // 000000008808: 0AD8D82F
	v_mul_f32_e32 v109, s47, v109                              // 00000000880C: 0ADADA2F
	s_mov_b32 m0, s78                                          // 000000008810: BEFC004E
	buffer_load_dword v11, s[24:27], 0 idxen lds               // 000000008814: E0512000 8006000B
	v_mfma_f32_16x16x32_f16 v[112:115], a[36:39], v[48:51], v[112:115]// 00000000881C: D3D40070 0DC26124
	ds_read_b128 a[8:11], v17 offset:2048                      // 000000008824: DBFE0800 08000011
	ds_read_b128 a[12:15], v17 offset:3072                     // 00000000882C: DBFE0C00 0C000011
	v_mfma_f32_16x16x32_f16 v[112:115], a[40:43], v[52:55], v[112:115]// 000000008834: D3D40070 0DC26928
	s_add_u32 s60, 64, s59                                     // 00000000883C: 803C3BC0
	s_cmp_lt_u32 s60, s58                                      // 000000008840: BF0A3A3C
	s_cselect_b32 s68, s68, 0                                  // 000000008844: 85448044
	s_cselect_b32 s101, s101, 0                                // 000000008848: 85658065
	s_cselect_b32 s69, s69, 0                                  // 00000000884C: 85458045
	v_mfma_f32_16x16x32_f16 v[112:115], a[44:47], v[56:59], v[112:115]// 000000008850: D3D40070 0DC2712C
	ds_read_b128 a[16:19], v17 offset:4096                     // 000000008858: DBFE1000 10000011
	ds_read_b128 a[20:23], v17 offset:5120                     // 000000008860: DBFE1400 14000011
	v_mfma_f32_16x16x32_f16 v[116:119], a[48:51], v[36:39], 0  // 000000008868: D3D40074 0A024930
	v_add_u32_e32 v1, s68, v1                                  // 000000008870: 68020244
	v_add_u32_e32 v2, s68, v2                                  // 000000008874: 68040444
	;; [unrolled: 1-line block ×3, first 2 shown]
	v_add_u32_e32 v4, s101, v4                                 // 00000000887C: 68080865
	v_add_u32_e32 v11, s69, v11                                // 000000008880: 68161645
	v_mfma_f32_16x16x32_f16 v[116:119], a[52:55], v[40:43], v[116:119]// 000000008884: D3D40074 0DD25134
	ds_read_b128 a[24:27], v17 offset:24576                    // 00000000888C: DBFE6000 18000011
	ds_read_b128 a[28:31], v17 offset:25600                    // 000000008894: DBFE6400 1C000011
	s_waitcnt lgkmcnt(14)                                      // 00000000889C: BF8CCE7F
	v_mfma_f32_16x16x32_f16 v[116:119], a[56:59], v[44:47], v[116:119]// 0000000088A0: D3D40074 0DD25938
	v_mul_f32_e32 v110, s47, v110                              // 0000000088A8: 0ADCDC2F
	v_mul_f32_e32 v111, s47, v111                              // 0000000088AC: 0ADEDE2F
	s_cmp_ge_u32 s59, s73                                      // 0000000088B0: BF09493B
	s_cselect_b32 s66, s67, s66                                // 0000000088B4: 85424243
	v_mfma_f32_16x16x32_f16 v[116:119], a[60:63], v[48:51], v[116:119]// 0000000088B8: D3D40074 0DD2613C
	ds_read_b128 a[32:35], v17 offset:26624                    // 0000000088C0: DBFE6800 20000011
	ds_read_b128 a[36:39], v17 offset:27648                    // 0000000088C8: DBFE6C00 24000011
	v_mfma_f32_16x16x32_f16 v[116:119], v[248:251], v[52:55], v[116:119]// 0000000088D0: D3D40074 05D269F8
	s_addk_i32 s59, 0x10                                       // 0000000088D8: B73B0010
	v_mul_f32_e32 v112, s47, v112                              // 0000000088DC: 0AE0E02F
	v_mul_f32_e32 v113, s47, v113                              // 0000000088E0: 0AE2E22F
	s_cmp_lt_i32 s59, s58                                      // 0000000088E4: BF043A3B
	v_mfma_f32_16x16x32_f16 v[116:119], v[252:255], v[56:59], v[116:119]// 0000000088E8: D3D40074 05D271FC
	ds_read_b128 a[40:43], v17 offset:28672                    // 0000000088F0: DBFE7000 28000011
	ds_read_b128 a[44:47], v17 offset:29696                    // 0000000088F8: DBFE7400 2C000011
	s_cbranch_scc0 label_0F4C                                  // 000000008900: BF84FCFC
	s_waitcnt lgkmcnt(2)                                       // 000000008904: BF8CC27F
	v_mfma_f32_16x16x32_f16 v[36:39], v[224:227], a[0:3], 0    // 000000008908: D3D40024 120201E0
	v_add_u32_e32 v7, s66, v7                                  // 000000008910: 680E0E42
	v_add_u32_e32 v8, s66, v8                                  // 000000008914: 68101042
	v_add_u32_e32 v9, s66, v9                                  // 000000008918: 68121242
	v_mfma_f32_16x16x32_f16 v[36:39], v[228:231], a[4:7], v[36:39]// 00000000891C: D3D40024 149209E4
	ds_read_b128 a[48:51], v17 offset:49152                    // 000000008924: DBFEC000 30000011
	ds_read_b128 a[52:55], v17 offset:50176                    // 00000000892C: DBFEC400 34000011
	v_mfma_f32_16x16x32_f16 v[36:39], v[232:235], a[8:11], v[36:39]// 000000008934: D3D40024 149211E8
	v_cvt_pk_f16_f32 v108, v108, v109                          // 00000000893C: D267006C 0002DB6C
	v_cvt_pk_f16_f32 v109, v110, v111                          // 000000008944: D267006D 0002DF6E
	v_mfma_f32_16x16x32_f16 v[36:39], v[236:239], a[12:15], v[36:39]// 00000000894C: D3D40024 149219EC
	ds_read_b128 a[56:59], v17 offset:51200                    // 000000008954: DBFEC800 38000011
	ds_read_b128 a[60:63], v17 offset:52224                    // 00000000895C: DBFECC00 3C000011
	v_mfma_f32_16x16x32_f16 v[36:39], v[240:243], a[16:19], v[36:39]// 000000008964: D3D40024 149221F0
	v_mul_f32_e32 v114, s47, v114                              // 00000000896C: 0AE4E42F
	v_mul_f32_e32 v115, s47, v115                              // 000000008970: 0AE6E62F
	v_mfma_f32_16x16x32_f16 v[36:39], v[244:247], a[20:23], v[36:39]// 000000008974: D3D40024 149229F4
	ds_read_b128 v[248:251], v17 offset:53248                  // 00000000897C: D9FED000 F8000011
	ds_read_b128 v[252:255], v17 offset:54272                  // 000000008984: D9FED400 FC000011
	v_mfma_f32_16x16x32_f16 v[40:43], v[224:227], a[24:27], 0  // 00000000898C: D3D40028 120231E0
	v_mul_f32_e32 v116, s47, v116                              // 000000008994: 0AE8E82F
	v_mul_f32_e32 v117, s47, v117                              // 000000008998: 0AEAEA2F
	v_mfma_f32_16x16x32_f16 v[40:43], v[228:231], a[28:31], v[40:43]// 00000000899C: D3D40028 14A239E4
	ds_read_b128 v[72:75], v12 offset:22528                    // 0000000089A4: D9FE5800 4800000C
	ds_read_b128 v[76:79], v12 offset:23552                    // 0000000089AC: D9FE5C00 4C00000C
	v_mfma_f32_16x16x32_f16 v[40:43], v[232:235], a[32:35], v[40:43]// 0000000089B4: D3D40028 14A241E8
	v_mul_f32_e32 v118, s47, v118                              // 0000000089BC: 0AECEC2F
	v_mul_f32_e32 v119, s47, v119                              // 0000000089C0: 0AEEEE2F
	v_cvt_pk_f16_f32 v110, v112, v113                          // 0000000089C4: D267006E 0002E370
	v_cvt_pk_f16_f32 v111, v114, v115                          // 0000000089CC: D267006F 0002E772
	v_mfma_f32_16x16x32_f16 v[40:43], v[236:239], a[36:39], v[40:43]// 0000000089D4: D3D40028 14A249EC
	ds_read_b128 v[80:83], v12 offset:24576                    // 0000000089DC: D9FE6000 5000000C
	ds_read_b128 v[84:87], v12 offset:25600                    // 0000000089E4: D9FE6400 5400000C
	s_waitcnt lgkmcnt(10)                                      // 0000000089EC: BF8CCA7F
	v_mfma_f32_16x16x32_f16 v[40:43], v[240:243], a[40:43], v[40:43]// 0000000089F0: D3D40028 14A251F0
	v_fma_f32 v36, v36, s57, -v104                             // 0000000089F8: D1CB0024 85A07324
	v_fma_f32 v37, v37, s57, -v105                             // 000000008A00: D1CB0025 85A47325
	v_mfma_f32_16x16x32_f16 v[40:43], v[244:247], a[44:47], v[40:43]// 000000008A08: D3D40028 14A259F4
	ds_read_b64_tr_b16 v[88:89], v13 offset:22528              // 000000008A10: D9C65800 5800000D
	ds_read_b64_tr_b16 v[90:91], v13 offset:22784              // 000000008A18: D9C65900 5A00000D
	s_waitcnt lgkmcnt(10)                                      // 000000008A20: BF8CCA7F
	v_mfma_f32_16x16x32_f16 v[44:47], v[224:227], a[48:51], 0  // 000000008A24: D3D4002C 120261E0
	v_fma_f32 v38, v38, s57, -v106                             // 000000008A2C: D1CB0026 85A87326
	v_fma_f32 v39, v39, s57, -v107                             // 000000008A34: D1CB0027 85AC7327
	v_mfma_f32_16x16x32_f16 v[44:47], v[228:231], a[52:55], v[44:47]// 000000008A3C: D3D4002C 14B269E4
	ds_read_b64_tr_b16 v[92:93], v13 offset:23552              // 000000008A44: D9C65C00 5C00000D
	ds_read_b64_tr_b16 v[94:95], v13 offset:23808              // 000000008A4C: D9C65D00 5E00000D
	s_waitcnt lgkmcnt(10)                                      // 000000008A54: BF8CCA7F
	v_mfma_f32_16x16x32_f16 v[44:47], v[232:235], a[56:59], v[44:47]// 000000008A58: D3D4002C 14B271E8
	v_fma_f32 v40, v40, s57, -v104                             // 000000008A60: D1CB0028 85A07328
	v_fma_f32 v41, v41, s57, -v105                             // 000000008A68: D1CB0029 85A47329
	v_cvt_pk_f16_f32 v112, v116, v117                          // 000000008A70: D2670070 0002EB74
	v_cvt_pk_f16_f32 v113, v118, v119                          // 000000008A78: D2670071 0002EF76
	v_mfma_f32_16x16x32_f16 v[44:47], v[236:239], a[60:63], v[44:47]// 000000008A80: D3D4002C 14B279EC
	ds_read_b64_tr_b16 v[96:97], v13 offset:24576              // 000000008A88: D9C66000 6000000D
	ds_read_b64_tr_b16 v[98:99], v13 offset:24832              // 000000008A90: D9C66100 6200000D
	s_waitcnt lgkmcnt(10)                                      // 000000008A98: BF8CCA7F
	v_mfma_f32_16x16x32_f16 v[44:47], v[240:243], v[248:251], v[44:47]// 000000008A9C: D3D4002C 04B3F1F0
	v_fma_f32 v42, v42, s57, -v106                             // 000000008AA4: D1CB002A 85A8732A
	v_fma_f32 v43, v43, s57, -v107                             // 000000008AAC: D1CB002B 85AC732B
	v_mfma_f32_16x16x32_f16 v[44:47], v[244:247], v[252:255], v[44:47]// 000000008AB4: D3D4002C 04B3F9F4
	ds_read_b64_tr_b16 v[100:101], v13 offset:25600            // 000000008ABC: D9C66400 6400000D
	ds_read_b64_tr_b16 v[102:103], v13 offset:25856            // 000000008AC4: D9C66500 6600000D
	s_cmp_lt_i32 s74, 12                                       // 000000008ACC: BF048C4A
	s_cbranch_scc0 label_133E                                  // 000000008AD0: BF840075
	s_mov_b32 s60, 0xffe0fffe                                  // 000000008AD4: BEBC00FF FFE0FFFE
	s_mov_b32 s61, 0xe000fe00                                  // 000000008ADC: BEBD00FF E000FE00
	s_nop 0                                                    // 000000008AE4: BF800000
	s_add_u32 s62, 0, s46                                      // 000000008AE8: 803E2E80
	s_cmp_lt_i32 s74, s62                                      // 000000008AEC: BF043E4A
	s_cbranch_scc1 label_12F9                                  // 000000008AF0: BF850028
	s_cmp_eq_i32 s74, s62                                      // 000000008AF4: BF003E4A
	s_cbranch_scc1 label_12DE                                  // 000000008AF8: BF85000B
	s_add_u32 s62, 4, s46                                      // 000000008AFC: 803E2E84
	s_cmp_lt_i32 s74, s62                                      // 000000008B00: BF043E4A
	s_cbranch_scc1 label_1319                                  // 000000008B04: BF850043
	s_cmp_eq_i32 s74, s62                                      // 000000008B08: BF003E4A
	s_cbranch_scc1 label_12FE                                  // 000000008B0C: BF850026
	s_add_u32 s62, 8, s46                                      // 000000008B10: 803E2E88
	s_cmp_lt_i32 s74, s62                                      // 000000008B14: BF043E4A
	s_cbranch_scc1 label_1339                                  // 000000008B18: BF85005E
	s_cmp_eq_i32 s74, s62                                      // 000000008B1C: BF003E4A
	s_cbranch_scc1 label_131E                                  // 000000008B20: BF850041
	s_branch label_133E                                        // 000000008B24: BF820060

0000000000008b28 <label_12DE>:
	v_cndmask_b32_e64 v36, v36, v127, s[60:61]                 // 000000008B28: D1000024 00F2FF24
	s_lshl_b32 s60, s60, 1                                     // 000000008B30: 8E3C813C
	s_lshl_b32 s61, s61, 1                                     // 000000008B34: 8E3D813D
	s_and_b32 s60, 0xfffeffff, s60                             // 000000008B38: 863C3CFF FFFEFFFF
	s_and_b32 s61, 0xfffeffff, s61                             // 000000008B40: 863D3DFF FFFEFFFF
	v_cndmask_b32_e64 v37, v37, v127, s[60:61]                 // 000000008B48: D1000025 00F2FF25
	s_lshl_b32 s60, s60, 1                                     // 000000008B50: 8E3C813C
	s_lshl_b32 s61, s61, 1                                     // 000000008B54: 8E3D813D
	s_and_b32 s60, 0xfffeffff, s60                             // 000000008B58: 863C3CFF FFFEFFFF
	s_and_b32 s61, 0xfffeffff, s61                             // 000000008B60: 863D3DFF FFFEFFFF
	v_cndmask_b32_e64 v38, v38, v127, s[60:61]                 // 000000008B68: D1000026 00F2FF26
	s_lshl_b32 s60, s60, 1                                     // 000000008B70: 8E3C813C
	s_lshl_b32 s61, s61, 1                                     // 000000008B74: 8E3D813D
	s_and_b32 s60, 0xfffeffff, s60                             // 000000008B78: 863C3CFF FFFEFFFF
	s_and_b32 s61, 0xfffeffff, s61                             // 000000008B80: 863D3DFF FFFEFFFF
	v_cndmask_b32_e64 v39, v39, v127, s[60:61]                 // 000000008B88: D1000027 00F2FF27
	s_branch label_1319                                        // 000000008B90: BF820020

0000000000008b94 <label_12F9>:
	v_mov_b32_e32 v36, v127                                    // 000000008B94: 7E48037F
	v_mov_b32_e32 v37, v127                                    // 000000008B98: 7E4A037F
	v_mov_b32_e32 v38, v127                                    // 000000008B9C: 7E4C037F
	v_mov_b32_e32 v39, v127                                    // 000000008BA0: 7E4E037F
	s_branch label_1319                                        // 000000008BA4: BF82001B

0000000000008ba8 <label_12FE>:
	v_cndmask_b32_e64 v40, v40, v127, s[60:61]                 // 000000008BA8: D1000028 00F2FF28
	s_lshl_b32 s60, s60, 1                                     // 000000008BB0: 8E3C813C
	s_lshl_b32 s61, s61, 1                                     // 000000008BB4: 8E3D813D
	s_and_b32 s60, 0xfffeffff, s60                             // 000000008BB8: 863C3CFF FFFEFFFF
	s_and_b32 s61, 0xfffeffff, s61                             // 000000008BC0: 863D3DFF FFFEFFFF
	v_cndmask_b32_e64 v41, v41, v127, s[60:61]                 // 000000008BC8: D1000029 00F2FF29
	s_lshl_b32 s60, s60, 1                                     // 000000008BD0: 8E3C813C
	s_lshl_b32 s61, s61, 1                                     // 000000008BD4: 8E3D813D
	s_and_b32 s60, 0xfffeffff, s60                             // 000000008BD8: 863C3CFF FFFEFFFF
	s_and_b32 s61, 0xfffeffff, s61                             // 000000008BE0: 863D3DFF FFFEFFFF
	v_cndmask_b32_e64 v42, v42, v127, s[60:61]                 // 000000008BE8: D100002A 00F2FF2A
	s_lshl_b32 s60, s60, 1                                     // 000000008BF0: 8E3C813C
	s_lshl_b32 s61, s61, 1                                     // 000000008BF4: 8E3D813D
	s_and_b32 s60, 0xfffeffff, s60                             // 000000008BF8: 863C3CFF FFFEFFFF
	s_and_b32 s61, 0xfffeffff, s61                             // 000000008C00: 863D3DFF FFFEFFFF
	v_cndmask_b32_e64 v43, v43, v127, s[60:61]                 // 000000008C08: D100002B 00F2FF2B
	s_branch label_1339                                        // 000000008C10: BF820020

0000000000008c14 <label_1319>:
	v_mov_b32_e32 v40, v127                                    // 000000008C14: 7E50037F
	v_mov_b32_e32 v41, v127                                    // 000000008C18: 7E52037F
	v_mov_b32_e32 v42, v127                                    // 000000008C1C: 7E54037F
	v_mov_b32_e32 v43, v127                                    // 000000008C20: 7E56037F
	s_branch label_1339                                        // 000000008C24: BF82001B

0000000000008c28 <label_131E>:
	v_cndmask_b32_e64 v44, v44, v127, s[60:61]                 // 000000008C28: D100002C 00F2FF2C
	s_lshl_b32 s60, s60, 1                                     // 000000008C30: 8E3C813C
	s_lshl_b32 s61, s61, 1                                     // 000000008C34: 8E3D813D
	s_and_b32 s60, 0xfffeffff, s60                             // 000000008C38: 863C3CFF FFFEFFFF
	s_and_b32 s61, 0xfffeffff, s61                             // 000000008C40: 863D3DFF FFFEFFFF
	v_cndmask_b32_e64 v45, v45, v127, s[60:61]                 // 000000008C48: D100002D 00F2FF2D
	s_lshl_b32 s60, s60, 1                                     // 000000008C50: 8E3C813C
	s_lshl_b32 s61, s61, 1                                     // 000000008C54: 8E3D813D
	s_and_b32 s60, 0xfffeffff, s60                             // 000000008C58: 863C3CFF FFFEFFFF
	s_and_b32 s61, 0xfffeffff, s61                             // 000000008C60: 863D3DFF FFFEFFFF
	v_cndmask_b32_e64 v46, v46, v127, s[60:61]                 // 000000008C68: D100002E 00F2FF2E
	s_lshl_b32 s60, s60, 1                                     // 000000008C70: 8E3C813C
	s_lshl_b32 s61, s61, 1                                     // 000000008C74: 8E3D813D
	s_and_b32 s60, 0xfffeffff, s60                             // 000000008C78: 863C3CFF FFFEFFFF
	s_and_b32 s61, 0xfffeffff, s61                             // 000000008C80: 863D3DFF FFFEFFFF
	v_cndmask_b32_e64 v47, v47, v127, s[60:61]                 // 000000008C88: D100002F 00F2FF2F
	s_branch label_133E                                        // 000000008C90: BF820005

0000000000008c94 <label_1339>:
	v_mov_b32_e32 v44, v127                                    // 000000008C94: 7E58037F
	v_mov_b32_e32 v45, v127                                    // 000000008C98: 7E5A037F
	v_mov_b32_e32 v46, v127                                    // 000000008C9C: 7E5C037F
	v_mov_b32_e32 v47, v127                                    // 000000008CA0: 7E5E037F
	s_branch label_133E                                        // 000000008CA4: BF820000

0000000000008ca8 <label_133E>:
	s_cmp_lt_i32 s64, 0xc0                                     // 000000008CA8: BF04FF40 000000C0
	s_cbranch_scc0 label_1393                                  // 000000008CB0: BF84004D
	s_cmp_le_i32 s64, 64                                       // 000000008CB4: BF05C040
	s_cbranch_scc1 label_134A                                  // 000000008CB8: BF850007
	s_cmp_le_i32 s64, 0x80                                     // 000000008CBC: BF05FF40 00000080
	s_cbranch_scc1 label_1362                                  // 000000008CC4: BF850017
	s_cmp_lt_i32 s64, 0xc0                                     // 000000008CC8: BF04FF40 000000C0
	s_cbranch_scc1 label_137A                                  // 000000008CD0: BF85002C
	s_branch label_1393                                        // 000000008CD4: BF820044

0000000000008cd8 <label_134A>:
	s_mov_b32 s60, 0                                           // 000000008CD8: BEBC0080
	v_and_b32_e32 v32, 15, v0                                  // 000000008CDC: 2640008F
	v_add_u32_e64 v32, v32, s60                                // 000000008CE0: D1340020 00007920
	v_mul_i32_i24_e64 v33, s46, 16                             // 000000008CE8: D1060021 0001202E
	v_add_u32_e32 v32, v32, v33                                // 000000008CF0: 68404320
	v_cmp_lt_u32_e64 s[60:61], v32, s64                        // 000000008CF4: D0C9003C 00008120
	s_nop 1                                                    // 000000008CFC: BF800001
	v_cndmask_b32_e64 v36, v127, v36, s[60:61]                 // 000000008D00: D1000024 00F2497F
	v_cndmask_b32_e64 v37, v127, v37, s[60:61]                 // 000000008D08: D1000025 00F24B7F
	v_cndmask_b32_e64 v38, v127, v38, s[60:61]                 // 000000008D10: D1000026 00F24D7F
	v_cndmask_b32_e64 v39, v127, v39, s[60:61]                 // 000000008D18: D1000027 00F24F7F
	s_branch label_1375                                        // 000000008D20: BF820013

0000000000008d24 <label_1362>:
	s_mov_b32 s60, 64                                          // 000000008D24: BEBC00C0
	v_and_b32_e32 v32, 15, v0                                  // 000000008D28: 2640008F
	v_add_u32_e64 v32, v32, s60                                // 000000008D2C: D1340020 00007920
	v_mul_i32_i24_e64 v33, s46, 16                             // 000000008D34: D1060021 0001202E
	v_add_u32_e32 v32, v32, v33                                // 000000008D3C: 68404320
	v_cmp_lt_u32_e64 s[60:61], v32, s64                        // 000000008D40: D0C9003C 00008120
	s_nop 1                                                    // 000000008D48: BF800001
	v_cndmask_b32_e64 v40, v127, v40, s[60:61]                 // 000000008D4C: D1000028 00F2517F
	v_cndmask_b32_e64 v41, v127, v41, s[60:61]                 // 000000008D54: D1000029 00F2537F
	v_cndmask_b32_e64 v42, v127, v42, s[60:61]                 // 000000008D5C: D100002A 00F2557F
	v_cndmask_b32_e64 v43, v127, v43, s[60:61]                 // 000000008D64: D100002B 00F2577F
	s_branch label_138E                                        // 000000008D6C: BF820019

0000000000008d70 <label_1375>:
	v_mov_b32_e32 v40, v127                                    // 000000008D70: 7E50037F
	v_mov_b32_e32 v41, v127                                    // 000000008D74: 7E52037F
	v_mov_b32_e32 v42, v127                                    // 000000008D78: 7E54037F
	v_mov_b32_e32 v43, v127                                    // 000000008D7C: 7E56037F
	s_branch label_138E                                        // 000000008D80: BF820014

0000000000008d84 <label_137A>:
	s_mov_b32 s60, 0x80                                        // 000000008D84: BEBC00FF 00000080
	v_and_b32_e32 v32, 15, v0                                  // 000000008D8C: 2640008F
	v_add_u32_e64 v32, v32, s60                                // 000000008D90: D1340020 00007920
	v_mul_i32_i24_e64 v33, s46, 16                             // 000000008D98: D1060021 0001202E
	v_add_u32_e32 v32, v32, v33                                // 000000008DA0: 68404320
	v_cmp_lt_u32_e64 s[60:61], v32, s64                        // 000000008DA4: D0C9003C 00008120
	s_nop 1                                                    // 000000008DAC: BF800001
	v_cndmask_b32_e64 v44, v127, v44, s[60:61]                 // 000000008DB0: D100002C 00F2597F
	v_cndmask_b32_e64 v45, v127, v45, s[60:61]                 // 000000008DB8: D100002D 00F25B7F
	v_cndmask_b32_e64 v46, v127, v46, s[60:61]                 // 000000008DC0: D100002E 00F25D7F
	v_cndmask_b32_e64 v47, v127, v47, s[60:61]                 // 000000008DC8: D100002F 00F25F7F
	s_branch label_1393                                        // 000000008DD0: BF820005

0000000000008dd4 <label_138E>:
	v_mov_b32_e32 v44, v127                                    // 000000008DD4: 7E58037F
	v_mov_b32_e32 v45, v127                                    // 000000008DD8: 7E5A037F
	v_mov_b32_e32 v46, v127                                    // 000000008DDC: 7E5C037F
	v_mov_b32_e32 v47, v127                                    // 000000008DE0: 7E5E037F
	s_branch label_1393                                        // 000000008DE4: BF820000

0000000000008de8 <label_1393>:
	s_addk_i32 s74, 0x1                                        // 000000008DE8: B74A0001
	s_waitcnt lgkmcnt(8)                                       // 000000008DEC: BF8CC87F
	v_mfma_f32_16x16x32_f16 v[60:63], v[72:75], a[64:67], 0    // 000000008DF0: D3D4003C 12028148
	v_exp_f32_e32 v36, v36                                     // 000000008DF8: 7E484124
	v_exp_f32_e32 v37, v37                                     // 000000008DFC: 7E4A4125
	v_mfma_f32_16x16x32_f16 v[60:63], v[76:79], a[68:71], v[60:63]// 000000008E00: D3D4003C 14F2894C
	v_exp_f32_e32 v38, v38                                     // 000000008E08: 7E4C4126
	v_exp_f32_e32 v39, v39                                     // 000000008E0C: 7E4E4127
	v_mfma_f32_16x16x32_f16 v[60:63], v[80:83], a[72:75], v[60:63]// 000000008E10: D3D4003C 14F29150
	v_fma_f32 v44, v44, s57, -v104                             // 000000008E18: D1CB002C 85A0732C
	v_fma_f32 v45, v45, s57, -v105                             // 000000008E20: D1CB002D 85A4732D
	v_exp_f32_e32 v40, v40                                     // 000000008E28: 7E504128
	v_exp_f32_e32 v41, v41                                     // 000000008E2C: 7E524129
	buffer_atomic_pk_add_f16 v108, v7, s[32:35], 0 offen       // 000000008E30: E1381000 80086C07
	v_mfma_f32_16x16x32_f16 v[60:63], v[84:87], a[76:79], v[60:63]// 000000008E38: D3D4003C 14F29954
	ds_read_b64_tr_b16 v[224:225], v13 offset:6144             // 000000008E40: D9C61800 E000000D
	ds_read_b64_tr_b16 v[226:227], v13 offset:6400             // 000000008E48: D9C61900 E200000D
	ds_read_b64_tr_b16 v[228:229], v13 offset:7168             // 000000008E50: D9C61C00 E400000D
	ds_read_b64_tr_b16 v[230:231], v13 offset:7424             // 000000008E58: D9C61D00 E600000D
	v_mfma_f32_16x16x32_f16 v[64:67], v[72:75], a[80:83], 0    // 000000008E60: D3D40040 1202A148
	v_fma_f32 v46, v46, s57, -v106                             // 000000008E68: D1CB002E 85A8732E
	v_fma_f32 v47, v47, s57, -v107                             // 000000008E70: D1CB002F 85AC732F
	v_exp_f32_e32 v42, v42                                     // 000000008E78: 7E54412A
	v_exp_f32_e32 v43, v43                                     // 000000008E7C: 7E56412B
	v_mfma_f32_16x16x32_f16 v[64:67], v[76:79], a[84:87], v[64:67]// 000000008E80: D3D40040 1502A94C
	ds_read_b64_tr_b16 v[232:233], v13 offset:8192             // 000000008E88: D9C62000 E800000D
	ds_read_b64_tr_b16 v[234:235], v13 offset:8448             // 000000008E90: D9C62100 EA00000D
	ds_read_b64_tr_b16 v[236:237], v13 offset:9216             // 000000008E98: D9C62400 EC00000D
	ds_read_b64_tr_b16 v[238:239], v13 offset:9472             // 000000008EA0: D9C62500 EE00000D
	v_mfma_f32_16x16x32_f16 v[64:67], v[80:83], a[88:91], v[64:67]// 000000008EA8: D3D40040 1502B150
	v_exp_f32_e32 v44, v44                                     // 000000008EB0: 7E58412C
	v_exp_f32_e32 v45, v45                                     // 000000008EB4: 7E5A412D
	v_mfma_f32_16x16x32_f16 v[64:67], v[84:87], a[92:95], v[64:67]// 000000008EB8: D3D40040 1502B954
	v_cvt_pk_f16_f32 v120, v36, v37                            // 000000008EC0: D2670078 00024B24
	v_cvt_pk_f16_f32 v121, v38, v39                            // 000000008EC8: D2670079 00024F26
	v_cvt_pk_f16_f32 v122, v40, v41                            // 000000008ED0: D267007A 00025328
	v_cvt_pk_f16_f32 v123, v42, v43                            // 000000008ED8: D267007B 0002572A
	v_mfma_f32_16x16x32_f16 v[68:71], v[72:75], a[96:99], 0    // 000000008EE0: D3D40044 1202C148
	v_exp_f32_e32 v46, v46                                     // 000000008EE8: 7E5C412E
	v_exp_f32_e32 v47, v47                                     // 000000008EEC: 7E5E412F
	v_mfma_f32_16x16x32_f16 v[68:71], v[76:79], a[100:103], v[68:71]// 000000008EF0: D3D40044 1512C94C
	v_permlane16_swap_b32_e32 v120, v122                       // 000000008EF8: 7EF0B37A
	v_permlane16_swap_b32_e32 v121, v123                       // 000000008EFC: 7EF2B37B
	v_mfma_f32_16x16x32_f16 v[68:71], v[80:83], a[104:107], v[68:71]// 000000008F00: D3D40044 1512D150
	v_cvt_pk_f16_f32 v124, v44, v45                            // 000000008F08: D267007C 00025B2C
	v_cvt_pk_f16_f32 v125, v46, v47                            // 000000008F10: D267007D 00025F2E
	buffer_atomic_pk_add_f16 v109, v7, s[32:35], 0 offen offset:768// 000000008F18: E1381300 80086D07
	v_mfma_f32_16x16x32_f16 v[68:71], v[84:87], a[108:111], v[68:71]// 000000008F20: D3D40044 1512D954
	ds_read_b64_tr_b16 v[240:241], v13 offset:10240            // 000000008F28: D9C62800 F000000D
	ds_read_b64_tr_b16 v[242:243], v13 offset:10496            // 000000008F30: D9C62900 F200000D
	ds_read_b64_tr_b16 v[244:245], v13 offset:11264            // 000000008F38: D9C62C00 F400000D
	ds_read_b64_tr_b16 v[246:247], v13 offset:11520            // 000000008F40: D9C62D00 F600000D
	s_waitcnt lgkmcnt(12)                                      // 000000008F48: BF8CCC7F
	v_mfma_f32_32x32x16_f16 v[128:143], v[88:91], v[120:123], v[128:143]// 000000008F4C: D3D50080 0602F158
	v_subrev_f32_dpp v60, v126, v60 quad_perm:[0,0,0,0] row_mask:0xf bank_mask:0xf// 000000008F54: 067878FA FF00007E
	v_subrev_f32_dpp v61, v126, v61 quad_perm:[1,1,1,1] row_mask:0xf bank_mask:0xf// 000000008F5C: 067A7AFA FF00557E
	v_subrev_f32_dpp v62, v126, v62 quad_perm:[2,2,2,2] row_mask:0xf bank_mask:0xf// 000000008F64: 067C7CFA FF00AA7E
	v_subrev_f32_dpp v63, v126, v63 quad_perm:[3,3,3,3] row_mask:0xf bank_mask:0xf// 000000008F6C: 067E7EFA FF00FF7E
	v_subrev_f32_dpp v64, v126, v64 quad_perm:[0,0,0,0] row_mask:0xf bank_mask:0xf// 000000008F74: 068080FA FF00007E
	v_subrev_f32_dpp v65, v126, v65 quad_perm:[1,1,1,1] row_mask:0xf bank_mask:0xf// 000000008F7C: 068282FA FF00557E
	v_subrev_f32_dpp v66, v126, v66 quad_perm:[2,2,2,2] row_mask:0xf bank_mask:0xf// 000000008F84: 068484FA FF00AA7E
	v_subrev_f32_dpp v67, v126, v67 quad_perm:[3,3,3,3] row_mask:0xf bank_mask:0xf// 000000008F8C: 068686FA FF00FF7E
	v_mul_f32_e32 v60, v36, v60                                // 000000008F94: 0A787924
	v_mul_f32_e32 v61, v37, v61                                // 000000008F98: 0A7A7B25
	v_mul_f32_e32 v62, v38, v62                                // 000000008F9C: 0A7C7D26
	v_mul_f32_e32 v63, v39, v63                                // 000000008FA0: 0A7E7F27
	v_mfma_f32_32x32x16_f16 v[144:159], v[92:95], v[120:123], v[144:159]// 000000008FA4: D3D50090 0642F15C
	ds_read_b64_tr_b16 a[0:1], v19                             // 000000008FAC: DBC60000 00000013
	ds_read_b64_tr_b16 a[2:3], v19 offset:256                  // 000000008FB4: DBC60100 02000013
	ds_read_b64_tr_b16 a[4:5], v19 offset:12288                // 000000008FBC: DBC63000 04000013
	ds_read_b64_tr_b16 a[6:7], v19 offset:12544                // 000000008FC4: DBC63100 06000013
	ds_read_b64_tr_b16 a[8:9], v19 offset:24576                // 000000008FCC: DBC66000 08000013
	buffer_atomic_pk_add_f16 v110, v8, s[32:35], 0 offen       // 000000008FD4: E1381000 80086E08
	v_mfma_f32_32x32x16_f16 v[160:175], v[96:99], v[120:123], v[160:175]// 000000008FDC: D3D500A0 0682F160
	v_mul_f32_e32 v64, v40, v64                                // 000000008FE4: 0A808128
	v_mul_f32_e32 v65, v41, v65                                // 000000008FE8: 0A828329
	v_mul_f32_e32 v66, v42, v66                                // 000000008FEC: 0A84852A
	v_mul_f32_e32 v67, v43, v67                                // 000000008FF0: 0A86872B
	v_permlane16_swap_b32_e32 v88, v90                         // 000000008FF4: 7EB0B35A
	v_permlane16_swap_b32_e32 v89, v91                         // 000000008FF8: 7EB2B35B
	v_cvt_pk_f16_f32 v60, v60, v61                             // 000000008FFC: D267003C 00027B3C
	v_cvt_pk_f16_f32 v61, v62, v63                             // 000000009004: D267003D 00027F3E
	v_cvt_pk_f16_f32 v62, v64, v65                             // 00000000900C: D267003E 00028340
	v_cvt_pk_f16_f32 v63, v66, v67                             // 000000009014: D267003F 00028742
	v_permlane16_swap_b32_e32 v92, v94                         // 00000000901C: 7EB8B35E
	v_permlane16_swap_b32_e32 v93, v95                         // 000000009020: 7EBAB35F
	v_mfma_f32_32x32x16_f16 v[176:191], v[100:103], v[120:123], v[176:191]// 000000009024: D3D500B0 06C2F164
	ds_read_b64_tr_b16 a[10:11], v19 offset:24832              // 00000000902C: DBC66100 0A000013
	ds_read_b64_tr_b16 a[12:13], v19 offset:36864              // 000000009034: DBC69000 0C000013
	ds_read_b64_tr_b16 a[14:15], v19 offset:37120              // 00000000903C: DBC69100 0E000013
	ds_read_b64_tr_b16 a[16:17], v19 offset:49152              // 000000009044: DBC6C000 10000013
	ds_read_b64_tr_b16 a[18:19], v19 offset:49408              // 00000000904C: DBC6C100 12000013
	ds_read_b32 v104, v16 offset:38656                         // 000000009054: D86C9700 68000010
	v_mfma_f32_16x16x16_f16 v[192:195], v[88:89], v[124:125], v[192:195]// 00000000905C: D3CD00C0 0702F958
	v_permlane16_swap_b32_e32 v96, v98                         // 000000009064: 7EC0B362
	v_permlane16_swap_b32_e32 v97, v99                         // 000000009068: 7EC2B363
	v_subrev_f32_dpp v68, v126, v68 quad_perm:[0,0,0,0] row_mask:0xf bank_mask:0xf// 00000000906C: 068888FA FF00007E
	v_subrev_f32_dpp v69, v126, v69 quad_perm:[1,1,1,1] row_mask:0xf bank_mask:0xf// 000000009074: 068A8AFA FF00557E
	v_mfma_f32_16x16x16_f16 v[196:199], v[90:91], v[124:125], v[196:199]// 00000000907C: D3CD00C4 0712F95A
	buffer_atomic_pk_add_f16 v111, v8, s[32:35], 0 offen offset:768// 000000009084: E1381300 80086F08
	ds_write_b64 v15, v[60:61] offset:30720                    // 00000000908C: D89A7800 00003C0F
	ds_write_b64 v15, v[62:63] offset:33024                    // 000000009094: D89A8100 00003E0F
	v_mfma_f32_16x16x16_f16 v[200:203], v[92:93], v[124:125], v[200:203]// 00000000909C: D3CD00C8 0722F95C
	v_permlane16_swap_b32_e32 v100, v102                       // 0000000090A4: 7EC8B366
	v_permlane16_swap_b32_e32 v101, v103                       // 0000000090A8: 7ECAB367
	v_subrev_f32_dpp v70, v126, v70 quad_perm:[2,2,2,2] row_mask:0xf bank_mask:0xf// 0000000090AC: 068C8CFA FF00AA7E
	v_subrev_f32_dpp v71, v126, v71 quad_perm:[3,3,3,3] row_mask:0xf bank_mask:0xf// 0000000090B4: 068E8EFA FF00FF7E
	v_mfma_f32_16x16x16_f16 v[204:207], v[94:95], v[124:125], v[204:207]// 0000000090BC: D3CD00CC 0732F95E
	v_permlane16_swap_b32_e32 v60, v62                         // 0000000090C4: 7E78B33E
	v_permlane16_swap_b32_e32 v61, v63                         // 0000000090C8: 7E7AB33F
	v_mfma_f32_16x16x16_f16 v[208:211], v[96:97], v[124:125], v[208:211]// 0000000090CC: D3CD00D0 0742F960
	v_mul_f32_e32 v68, v44, v68                                // 0000000090D4: 0A88892C
	v_mul_f32_e32 v69, v45, v69                                // 0000000090D8: 0A8A8B2D
	v_mul_f32_e32 v70, v46, v70                                // 0000000090DC: 0A8C8D2E
	v_mfma_f32_16x16x16_f16 v[212:215], v[98:99], v[124:125], v[212:215]// 0000000090E0: D3CD00D4 0752F962
	ds_read_b64_tr_b16 a[20:21], v19 offset:61440              // 0000000090E8: DBC6F000 14000013
	ds_read_b64_tr_b16 a[22:23], v19 offset:61696              // 0000000090F0: DBC6F100 16000013
	ds_read_b64_tr_b16 a[24:25], v20                           // 0000000090F8: DBC60000 18000014
	v_mfma_f32_16x16x16_f16 v[216:219], v[100:101], v[124:125], v[216:219]// 000000009100: D3CD00D8 0762F964
	v_mul_f32_e32 v71, v47, v71                                // 000000009108: 0A8E8F2F
	v_cvt_pk_f16_f32 v64, v68, v69                             // 00000000910C: D2670040 00028B44
	v_cvt_pk_f16_f32 v65, v70, v71                             // 000000009114: D2670041 00028F46
	v_mfma_f32_16x16x16_f16 v[220:223], v[102:103], v[124:125], v[220:223]// 00000000911C: D3CD00DC 0772F966
	ds_read_b32 v126, v16 offset:38912                         // 000000009124: D86C9800 7E000010
	ds_read_b64_tr_b16 a[26:27], v20 offset:256                // 00000000912C: DBC60100 1A000014
	ds_read_b64_tr_b16 a[28:29], v20 offset:12288              // 000000009134: DBC63000 1C000014
	s_waitcnt lgkmcnt(8)                                       // 00000000913C: BF8CC87F
	v_mfma_f32_32x32x16_f16 a[112:127], v[224:227], v[60:63], a[112:127]// 000000009140: D3D58070 05C279E0
	v_mul_f32_e32 v104, s48, v104                              // 000000009148: 0AD0D030
	buffer_atomic_pk_add_f16 v112, v9, s[32:35], 0 offen       // 00000000914C: E1381000 80087009
	v_mfma_f32_32x32x16_f16 a[128:143], v[228:231], v[60:63], a[128:143]// 000000009154: D3D58080 060279E4
	ds_read_b64_tr_b16 a[30:31], v20 offset:12544              // 00000000915C: DBC63100 1E000014
	ds_write_b64 v15, v[64:65] offset:35328                    // 000000009164: D89A8A00 0000400F
	ds_read_b64_tr_b16 a[32:33], v20 offset:24576              // 00000000916C: DBC66000 20000014
	ds_read_b64_tr_b16 a[34:35], v20 offset:24832              // 000000009174: DBC66100 22000014
	v_mfma_f32_32x32x16_f16 a[144:159], v[232:235], v[60:63], a[144:159]// 00000000917C: D3D58090 064279E8
	.long 0x7fc0b3e2                                           // 000000009184: 7FC0B3E2
	.long 0x7fc2b3e3                                           // 000000009188: 7FC2B3E3
	v_mfma_f32_32x32x16_f16 a[160:175], v[236:239], v[60:63], a[160:175]// 00000000918C: D3D580A0 068279EC
	ds_read_b64_tr_b16 a[36:37], v20 offset:36864              // 000000009194: DBC69000 24000014
	ds_read_b64_tr_b16 a[38:39], v20 offset:37120              // 00000000919C: DBC69100 26000014
	ds_read_b64_tr_b16 a[40:41], v20 offset:49152              // 0000000091A4: DBC6C000 28000014
	ds_read_b64_tr_b16 a[42:43], v20 offset:49408              // 0000000091AC: DBC6C100 2A000014
	ds_read_b64_tr_b16 a[44:45], v20 offset:61440              // 0000000091B4: DBC6F000 2C000014
	ds_read_b64_tr_b16 a[46:47], v20 offset:61696              // 0000000091BC: DBC6F100 2E000014
	s_waitcnt lgkmcnt(8)                                       // 0000000091C4: BF8CC87F
	s_barrier                                                  // 0000000091C8: BF8A0000
	v_mfma_f32_32x32x16_f16 a[176:191], v[240:243], v[60:63], a[176:191]// 0000000091CC: D3D580B0 06C279F0
	.long 0x7fc8b3e6                                           // 0000000091D4: 7FC8B3E6
	.long 0x7fcab3e7                                           // 0000000091D8: 7FCAB3E7
	v_mov_b32_dpp v107, v104 quad_perm:[3,3,3,3] row_mask:0xf bank_mask:0xf// 0000000091DC: 7ED602FA FF00FF68
	v_mov_b32_dpp v106, v104 quad_perm:[2,2,2,2] row_mask:0xf bank_mask:0xf// 0000000091E4: 7ED402FA FF00AA68
	v_mfma_f32_32x32x16_f16 a[192:207], v[244:247], v[60:63], a[192:207]// 0000000091EC: D3D580C0 070279F4
	ds_read_b64_tr_b16 v[36:37], v14 offset:30720              // 0000000091F4: D9C67800 2400000E
	ds_read_b64_tr_b16 v[38:39], v14 offset:30752              // 0000000091FC: D9C67820 2600000E
	ds_read_b64_tr_b16 v[40:41], v14 offset:31872              // 000000009204: D9C67C80 2800000E
	ds_read_b64_tr_b16 v[42:43], v14 offset:31904              // 00000000920C: D9C67CA0 2A00000E
	ds_read_b64_tr_b16 v[44:45], v14 offset:33024              // 000000009214: D9C68100 2C00000E
	ds_read_b64_tr_b16 v[46:47], v14 offset:33056              // 00000000921C: D9C68120 2E00000E
	v_mfma_f32_16x16x16_f16 a[208:211], v[224:225], v[64:65], a[208:211]// 000000009224: D3CD80D0 074281E0
	.long 0x7fd0b3ea                                           // 00000000922C: 7FD0B3EA
	.long 0x7fd2b3eb                                           // 000000009230: 7FD2B3EB
	v_mfma_f32_16x16x16_f16 a[212:215], v[226:227], v[64:65], a[212:215]// 000000009234: D3CD80D4 075281E2
	ds_read_b64_tr_b16 v[48:49], v14 offset:34176              // 00000000923C: D9C68580 3000000E
	ds_read_b64_tr_b16 v[50:51], v14 offset:34208              // 000000009244: D9C685A0 3200000E
	ds_read_b64_tr_b16 v[52:53], v14 offset:35328              // 00000000924C: D9C68A00 3400000E
	v_mfma_f32_16x16x16_f16 a[216:219], v[228:229], v[64:65], a[216:219]// 000000009254: D3CD80D8 076281E4
	v_permlane16_swap_b32_e32 v236, v238                       // 00000000925C: 7FD8B3EE
	v_permlane16_swap_b32_e32 v237, v239                       // 000000009260: 7FDAB3EF
	v_mfma_f32_16x16x16_f16 a[220:223], v[230:231], v[64:65], a[220:223]// 000000009264: D3CD80DC 077281E6
	ds_read_b64_tr_b16 v[54:55], v14 offset:35360              // 00000000926C: D9C68A20 3600000E
	ds_read_b64_tr_b16 v[56:57], v14 offset:36480              // 000000009274: D9C68E80 3800000E
	ds_read_b64_tr_b16 v[58:59], v14 offset:36512              // 00000000927C: D9C68EA0 3A00000E
	v_mfma_f32_16x16x16_f16 a[224:227], v[232:233], v[64:65], a[224:227]// 000000009284: D3CD80E0 078281E8
	v_permlane16_swap_b32_e32 v240, v242                       // 00000000928C: 7FE0B3F2
	v_permlane16_swap_b32_e32 v241, v243                       // 000000009290: 7FE2B3F3
	v_mfma_f32_16x16x16_f16 a[228:231], v[234:235], v[64:65], a[228:231]// 000000009294: D3CD80E4 079281EA
	ds_read_b64_tr_b16 a[48:49], v21                           // 00000000929C: DBC60000 30000015
	ds_read_b64_tr_b16 a[50:51], v21 offset:256                // 0000000092A4: DBC60100 32000015
	ds_read_b64_tr_b16 a[52:53], v21 offset:12288              // 0000000092AC: DBC63000 34000015
	v_mfma_f32_16x16x16_f16 a[232:235], v[236:237], v[64:65], a[232:235]// 0000000092B4: D3CD80E8 07A281EC
	v_permlane16_swap_b32_e32 v244, v246                       // 0000000092BC: 7FE8B3F6
	v_permlane16_swap_b32_e32 v245, v247                       // 0000000092C0: 7FEAB3F7
	v_mfma_f32_16x16x16_f16 a[236:239], v[238:239], v[64:65], a[236:239]// 0000000092C4: D3CD80EC 07B281EE
	ds_read_b64_tr_b16 a[54:55], v21 offset:12544              // 0000000092CC: DBC63100 36000015
	ds_read_b64_tr_b16 a[56:57], v21 offset:24576              // 0000000092D4: DBC66000 38000015
	ds_read_b64_tr_b16 a[58:59], v21 offset:24832              // 0000000092DC: DBC66100 3A000015
	v_mfma_f32_16x16x16_f16 a[240:243], v[240:241], v[64:65], a[240:243]// 0000000092E4: D3CD80F0 07C281F0
	v_mov_b32_dpp v105, v104 quad_perm:[1,1,1,1] row_mask:0xf bank_mask:0xf// 0000000092EC: 7ED202FA FF005568
	buffer_atomic_pk_add_f16 v113, v9, s[32:35], 0 offen offset:768// 0000000092F4: E1381300 80087109
	v_mfma_f32_16x16x16_f16 a[244:247], v[242:243], v[64:65], a[244:247]// 0000000092FC: D3CD80F4 07D281F2
	ds_read_b64_tr_b16 a[60:61], v21 offset:36864              // 000000009304: DBC69000 3C000015
	ds_read_b64_tr_b16 a[62:63], v21 offset:37120              // 00000000930C: DBC69100 3E000015
	ds_read_b64_tr_b16 v[248:249], v21 offset:49152            // 000000009314: D9C6C000 F8000015
	v_mfma_f32_16x16x16_f16 a[248:251], v[244:245], v[64:65], a[248:251]// 00000000931C: D3CD80F8 07E281F4
	v_mov_b32_dpp v104, v104 quad_perm:[0,0,0,0] row_mask:0xf bank_mask:0xf// 000000009324: 7ED002FA FF000068
	v_mfma_f32_16x16x16_f16 a[252:255], v[246:247], v[64:65], a[252:255]// 00000000932C: D3CD80FC 07F281F6
	ds_read_b64_tr_b16 v[250:251], v21 offset:49408            // 000000009334: D9C6C100 FA000015
	ds_read_b64_tr_b16 v[252:253], v21 offset:61440            // 00000000933C: D9C6F000 FC000015
	ds_read_b64_tr_b16 v[254:255], v21 offset:61696            // 000000009344: D9C6F100 FE000015
	s_waitcnt vmcnt(6) lgkmcnt(6)                              // 00000000934C: BF8C0676
	s_barrier                                                  // 000000009350: BF8A0000
	v_mfma_f32_16x16x32_f16 v[108:111], a[0:3], v[36:39], 0    // 000000009354: D3D4006C 0A024900
	s_mov_b32 m0, s84                                          // 00000000935C: BEFC0054
	buffer_load_dwordx4 v1, s[8:11], 0 idxen lds               // 000000009360: E05D2000 80020001
	v_mfma_f32_16x16x32_f16 v[108:111], a[4:7], v[40:43], v[108:111]// 000000009368: D3D4006C 0DB25104
	ds_read_b128 v[224:227], v12 offset:12288                  // 000000009370: D9FE3000 E000000C
	ds_read_b128 v[228:231], v12 offset:13312                  // 000000009378: D9FE3400 E400000C
	v_mfma_f32_16x16x32_f16 v[108:111], a[8:11], v[44:47], v[108:111]// 000000009380: D3D4006C 0DB25908
	s_mov_b32 m0, s85                                          // 000000009388: BEFC0055
	buffer_load_dword v2, s[8:11], 0 idxen lds                 // 00000000938C: E0512000 80020002
	v_mfma_f32_16x16x32_f16 v[108:111], a[12:15], v[48:51], v[108:111]// 000000009394: D3D4006C 0DB2610C
	ds_read_b128 v[232:235], v12 offset:14336                  // 00000000939C: D9FE3800 E800000C
	ds_read_b128 v[236:239], v12 offset:15360                  // 0000000093A4: D9FE3C00 EC00000C
	v_mfma_f32_16x16x32_f16 v[108:111], a[16:19], v[52:55], v[108:111]// 0000000093AC: D3D4006C 0DB26910
	s_mov_b32 m0, s86                                          // 0000000093B4: BEFC0056
	buffer_load_dword v3, s[8:11], 0 idxen lds                 // 0000000093B8: E0512000 80020003
	v_mfma_f32_16x16x32_f16 v[108:111], a[20:23], v[56:59], v[108:111]// 0000000093C0: D3D4006C 0DB27114
	ds_read_b128 v[240:243], v12 offset:16384                  // 0000000093C8: D9FE4000 F000000C
	ds_read_b128 v[244:247], v12 offset:17408                  // 0000000093D0: D9FE4400 F400000C
	v_mfma_f32_16x16x32_f16 v[112:115], a[24:27], v[36:39], 0  // 0000000093D8: D3D40070 0A024918
	s_mov_b32 m0, s91                                          // 0000000093E0: BEFC005B
	buffer_load_dwordx4 v4, s[20:23], 0 idxen lds              // 0000000093E4: E05D2000 80050004
	v_mfma_f32_16x16x32_f16 v[112:115], a[28:31], v[40:43], v[112:115]// 0000000093EC: D3D40070 0DC2511C
	ds_read_b128 a[0:3], v17                                   // 0000000093F4: DBFE0000 00000011
	ds_read_b128 a[4:7], v17 offset:1024                       // 0000000093FC: DBFE0400 04000011
	v_mfma_f32_16x16x32_f16 v[112:115], a[32:35], v[44:47], v[112:115]// 000000009404: D3D40070 0DC25920
	v_mul_f32_e32 v108, s47, v108                              // 00000000940C: 0AD8D82F
	v_mul_f32_e32 v109, s47, v109                              // 000000009410: 0ADADA2F
	s_mov_b32 m0, s79                                          // 000000009414: BEFC004F
	buffer_load_dword v11, s[24:27], 0 idxen lds               // 000000009418: E0512000 8006000B
	v_mfma_f32_16x16x32_f16 v[112:115], a[36:39], v[48:51], v[112:115]// 000000009420: D3D40070 0DC26124
	ds_read_b128 a[8:11], v17 offset:2048                      // 000000009428: DBFE0800 08000011
	ds_read_b128 a[12:15], v17 offset:3072                     // 000000009430: DBFE0C00 0C000011
	v_mfma_f32_16x16x32_f16 v[112:115], a[40:43], v[52:55], v[112:115]// 000000009438: D3D40070 0DC26928
	s_add_u32 s60, 64, s59                                     // 000000009440: 803C3BC0
	s_cmp_lt_u32 s60, s58                                      // 000000009444: BF0A3A3C
	s_cselect_b32 s68, s68, 0                                  // 000000009448: 85448044
	s_cselect_b32 s101, s101, 0                                // 00000000944C: 85658065
	s_cselect_b32 s69, s69, 0                                  // 000000009450: 85458045
	v_mfma_f32_16x16x32_f16 v[112:115], a[44:47], v[56:59], v[112:115]// 000000009454: D3D40070 0DC2712C
	ds_read_b128 a[16:19], v17 offset:4096                     // 00000000945C: DBFE1000 10000011
	ds_read_b128 a[20:23], v17 offset:5120                     // 000000009464: DBFE1400 14000011
	v_mfma_f32_16x16x32_f16 v[116:119], a[48:51], v[36:39], 0  // 00000000946C: D3D40074 0A024930
	v_add_u32_e32 v1, s68, v1                                  // 000000009474: 68020244
	v_add_u32_e32 v2, s68, v2                                  // 000000009478: 68040444
	v_add_u32_e32 v3, s68, v3                                  // 00000000947C: 68060644
	v_add_u32_e32 v4, s101, v4                                 // 000000009480: 68080865
	v_add_u32_e32 v11, s69, v11                                // 000000009484: 68161645
	v_mfma_f32_16x16x32_f16 v[116:119], a[52:55], v[40:43], v[116:119]// 000000009488: D3D40074 0DD25134
	ds_read_b128 a[24:27], v17 offset:24576                    // 000000009490: DBFE6000 18000011
	ds_read_b128 a[28:31], v17 offset:25600                    // 000000009498: DBFE6400 1C000011
	s_waitcnt lgkmcnt(14)                                      // 0000000094A0: BF8CCE7F
	v_mfma_f32_16x16x32_f16 v[116:119], a[56:59], v[44:47], v[116:119]// 0000000094A4: D3D40074 0DD25938
	v_mul_f32_e32 v110, s47, v110                              // 0000000094AC: 0ADCDC2F
	v_mul_f32_e32 v111, s47, v111                              // 0000000094B0: 0ADEDE2F
	s_cmp_ge_u32 s59, s73                                      // 0000000094B4: BF09493B
	s_cselect_b32 s66, s67, s66                                // 0000000094B8: 85424243
	v_mfma_f32_16x16x32_f16 v[116:119], a[60:63], v[48:51], v[116:119]// 0000000094BC: D3D40074 0DD2613C
	ds_read_b128 a[32:35], v17 offset:26624                    // 0000000094C4: DBFE6800 20000011
	ds_read_b128 a[36:39], v17 offset:27648                    // 0000000094CC: DBFE6C00 24000011
	v_mfma_f32_16x16x32_f16 v[116:119], v[248:251], v[52:55], v[116:119]// 0000000094D4: D3D40074 05D269F8
	s_addk_i32 s59, 0x10                                       // 0000000094DC: B73B0010
	v_mul_f32_e32 v112, s47, v112                              // 0000000094E0: 0AE0E02F
	v_mul_f32_e32 v113, s47, v113                              // 0000000094E4: 0AE2E22F
	s_cmp_lt_i32 s59, s58                                      // 0000000094E8: BF043A3B
	v_mfma_f32_16x16x32_f16 v[116:119], v[252:255], v[56:59], v[116:119]// 0000000094EC: D3D40074 05D271FC
	ds_read_b128 a[40:43], v17 offset:28672                    // 0000000094F4: DBFE7000 28000011
	ds_read_b128 a[44:47], v17 offset:29696                    // 0000000094FC: DBFE7400 2C000011
	s_cbranch_scc0 label_0F4C                                  // 000000009504: BF84F9FB
	s_waitcnt lgkmcnt(2)                                       // 000000009508: BF8CC27F
	v_mfma_f32_16x16x32_f16 v[36:39], v[224:227], a[0:3], 0    // 00000000950C: D3D40024 120201E0
	v_add_u32_e32 v7, s66, v7                                  // 000000009514: 680E0E42
	v_add_u32_e32 v8, s66, v8                                  // 000000009518: 68101042
	v_add_u32_e32 v9, s66, v9                                  // 00000000951C: 68121242
	v_mfma_f32_16x16x32_f16 v[36:39], v[228:231], a[4:7], v[36:39]// 000000009520: D3D40024 149209E4
	ds_read_b128 a[48:51], v17 offset:49152                    // 000000009528: DBFEC000 30000011
	ds_read_b128 a[52:55], v17 offset:50176                    // 000000009530: DBFEC400 34000011
	v_mfma_f32_16x16x32_f16 v[36:39], v[232:235], a[8:11], v[36:39]// 000000009538: D3D40024 149211E8
	v_cvt_pk_f16_f32 v108, v108, v109                          // 000000009540: D267006C 0002DB6C
	v_cvt_pk_f16_f32 v109, v110, v111                          // 000000009548: D267006D 0002DF6E
	v_mfma_f32_16x16x32_f16 v[36:39], v[236:239], a[12:15], v[36:39]// 000000009550: D3D40024 149219EC
	ds_read_b128 a[56:59], v17 offset:51200                    // 000000009558: DBFEC800 38000011
	ds_read_b128 a[60:63], v17 offset:52224                    // 000000009560: DBFECC00 3C000011
	v_mfma_f32_16x16x32_f16 v[36:39], v[240:243], a[16:19], v[36:39]// 000000009568: D3D40024 149221F0
	v_mul_f32_e32 v114, s47, v114                              // 000000009570: 0AE4E42F
	v_mul_f32_e32 v115, s47, v115                              // 000000009574: 0AE6E62F
	v_mfma_f32_16x16x32_f16 v[36:39], v[244:247], a[20:23], v[36:39]// 000000009578: D3D40024 149229F4
	ds_read_b128 v[248:251], v17 offset:53248                  // 000000009580: D9FED000 F8000011
	ds_read_b128 v[252:255], v17 offset:54272                  // 000000009588: D9FED400 FC000011
	v_mfma_f32_16x16x32_f16 v[40:43], v[224:227], a[24:27], 0  // 000000009590: D3D40028 120231E0
	v_mul_f32_e32 v116, s47, v116                              // 000000009598: 0AE8E82F
	v_mul_f32_e32 v117, s47, v117                              // 00000000959C: 0AEAEA2F
	v_mfma_f32_16x16x32_f16 v[40:43], v[228:231], a[28:31], v[40:43]// 0000000095A0: D3D40028 14A239E4
	ds_read_b128 v[72:75], v12 offset:26624                    // 0000000095A8: D9FE6800 4800000C
	ds_read_b128 v[76:79], v12 offset:27648                    // 0000000095B0: D9FE6C00 4C00000C
	v_mfma_f32_16x16x32_f16 v[40:43], v[232:235], a[32:35], v[40:43]// 0000000095B8: D3D40028 14A241E8
	v_mul_f32_e32 v118, s47, v118                              // 0000000095C0: 0AECEC2F
	v_mul_f32_e32 v119, s47, v119                              // 0000000095C4: 0AEEEE2F
	v_cvt_pk_f16_f32 v110, v112, v113                          // 0000000095C8: D267006E 0002E370
	v_cvt_pk_f16_f32 v111, v114, v115                          // 0000000095D0: D267006F 0002E772
	v_mfma_f32_16x16x32_f16 v[40:43], v[236:239], a[36:39], v[40:43]// 0000000095D8: D3D40028 14A249EC
	ds_read_b128 v[80:83], v12 offset:28672                    // 0000000095E0: D9FE7000 5000000C
	ds_read_b128 v[84:87], v12 offset:29696                    // 0000000095E8: D9FE7400 5400000C
	s_waitcnt lgkmcnt(10)                                      // 0000000095F0: BF8CCA7F
	v_mfma_f32_16x16x32_f16 v[40:43], v[240:243], a[40:43], v[40:43]// 0000000095F4: D3D40028 14A251F0
	v_fma_f32 v36, v36, s57, -v104                             // 0000000095FC: D1CB0024 85A07324
	v_fma_f32 v37, v37, s57, -v105                             // 000000009604: D1CB0025 85A47325
	v_mfma_f32_16x16x32_f16 v[40:43], v[244:247], a[44:47], v[40:43]// 00000000960C: D3D40028 14A259F4
	ds_read_b64_tr_b16 v[88:89], v13 offset:26624              // 000000009614: D9C66800 5800000D
	ds_read_b64_tr_b16 v[90:91], v13 offset:26880              // 00000000961C: D9C66900 5A00000D
	s_waitcnt lgkmcnt(10)                                      // 000000009624: BF8CCA7F
	v_mfma_f32_16x16x32_f16 v[44:47], v[224:227], a[48:51], 0  // 000000009628: D3D4002C 120261E0
	v_fma_f32 v38, v38, s57, -v106                             // 000000009630: D1CB0026 85A87326
	v_fma_f32 v39, v39, s57, -v107                             // 000000009638: D1CB0027 85AC7327
	v_mfma_f32_16x16x32_f16 v[44:47], v[228:231], a[52:55], v[44:47]// 000000009640: D3D4002C 14B269E4
	ds_read_b64_tr_b16 v[92:93], v13 offset:27648              // 000000009648: D9C66C00 5C00000D
	ds_read_b64_tr_b16 v[94:95], v13 offset:27904              // 000000009650: D9C66D00 5E00000D
	s_waitcnt lgkmcnt(10)                                      // 000000009658: BF8CCA7F
	v_mfma_f32_16x16x32_f16 v[44:47], v[232:235], a[56:59], v[44:47]// 00000000965C: D3D4002C 14B271E8
	v_fma_f32 v40, v40, s57, -v104                             // 000000009664: D1CB0028 85A07328
	v_fma_f32 v41, v41, s57, -v105                             // 00000000966C: D1CB0029 85A47329
	v_cvt_pk_f16_f32 v112, v116, v117                          // 000000009674: D2670070 0002EB74
	v_cvt_pk_f16_f32 v113, v118, v119                          // 00000000967C: D2670071 0002EF76
	v_mfma_f32_16x16x32_f16 v[44:47], v[236:239], a[60:63], v[44:47]// 000000009684: D3D4002C 14B279EC
	ds_read_b64_tr_b16 v[96:97], v13 offset:28672              // 00000000968C: D9C67000 6000000D
	ds_read_b64_tr_b16 v[98:99], v13 offset:28928              // 000000009694: D9C67100 6200000D
	s_waitcnt lgkmcnt(10)                                      // 00000000969C: BF8CCA7F
	v_mfma_f32_16x16x32_f16 v[44:47], v[240:243], v[248:251], v[44:47]// 0000000096A0: D3D4002C 04B3F1F0
	v_fma_f32 v42, v42, s57, -v106                             // 0000000096A8: D1CB002A 85A8732A
	v_fma_f32 v43, v43, s57, -v107                             // 0000000096B0: D1CB002B 85AC732B
	v_mfma_f32_16x16x32_f16 v[44:47], v[244:247], v[252:255], v[44:47]// 0000000096B8: D3D4002C 04B3F9F4
	ds_read_b64_tr_b16 v[100:101], v13 offset:29696            // 0000000096C0: D9C67400 6400000D
	ds_read_b64_tr_b16 v[102:103], v13 offset:29952            // 0000000096C8: D9C67500 6600000D
	s_cmp_lt_i32 s74, 12                                       // 0000000096D0: BF048C4A
	s_cbranch_scc0 label_1644                                  // 0000000096D4: BF840075
	s_mov_b32 s60, 0xffe0fffe                                  // 0000000096D8: BEBC00FF FFE0FFFE
	s_mov_b32 s61, 0xe000fe00                                  // 0000000096E0: BEBD00FF E000FE00
	s_nop 0                                                    // 0000000096E8: BF800000
	s_add_u32 s62, 0, s46                                      // 0000000096EC: 803E2E80
	s_cmp_lt_i32 s74, s62                                      // 0000000096F0: BF043E4A
	s_cbranch_scc1 label_15FF                                  // 0000000096F4: BF850028
	s_cmp_eq_i32 s74, s62                                      // 0000000096F8: BF003E4A
	s_cbranch_scc1 label_15E4                                  // 0000000096FC: BF85000B
	s_add_u32 s62, 4, s46                                      // 000000009700: 803E2E84
	s_cmp_lt_i32 s74, s62                                      // 000000009704: BF043E4A
	s_cbranch_scc1 label_161F                                  // 000000009708: BF850043
	s_cmp_eq_i32 s74, s62                                      // 00000000970C: BF003E4A
	s_cbranch_scc1 label_1604                                  // 000000009710: BF850026
	s_add_u32 s62, 8, s46                                      // 000000009714: 803E2E88
	s_cmp_lt_i32 s74, s62                                      // 000000009718: BF043E4A
	s_cbranch_scc1 label_163F                                  // 00000000971C: BF85005E
	s_cmp_eq_i32 s74, s62                                      // 000000009720: BF003E4A
	s_cbranch_scc1 label_1624                                  // 000000009724: BF850041
	s_branch label_1644                                        // 000000009728: BF820060

000000000000972c <label_15E4>:
	v_cndmask_b32_e64 v36, v36, v127, s[60:61]                 // 00000000972C: D1000024 00F2FF24
	s_lshl_b32 s60, s60, 1                                     // 000000009734: 8E3C813C
	s_lshl_b32 s61, s61, 1                                     // 000000009738: 8E3D813D
	s_and_b32 s60, 0xfffeffff, s60                             // 00000000973C: 863C3CFF FFFEFFFF
	s_and_b32 s61, 0xfffeffff, s61                             // 000000009744: 863D3DFF FFFEFFFF
	v_cndmask_b32_e64 v37, v37, v127, s[60:61]                 // 00000000974C: D1000025 00F2FF25
	s_lshl_b32 s60, s60, 1                                     // 000000009754: 8E3C813C
	s_lshl_b32 s61, s61, 1                                     // 000000009758: 8E3D813D
	s_and_b32 s60, 0xfffeffff, s60                             // 00000000975C: 863C3CFF FFFEFFFF
	s_and_b32 s61, 0xfffeffff, s61                             // 000000009764: 863D3DFF FFFEFFFF
	v_cndmask_b32_e64 v38, v38, v127, s[60:61]                 // 00000000976C: D1000026 00F2FF26
	s_lshl_b32 s60, s60, 1                                     // 000000009774: 8E3C813C
	s_lshl_b32 s61, s61, 1                                     // 000000009778: 8E3D813D
	s_and_b32 s60, 0xfffeffff, s60                             // 00000000977C: 863C3CFF FFFEFFFF
	s_and_b32 s61, 0xfffeffff, s61                             // 000000009784: 863D3DFF FFFEFFFF
	v_cndmask_b32_e64 v39, v39, v127, s[60:61]                 // 00000000978C: D1000027 00F2FF27
	s_branch label_161F                                        // 000000009794: BF820020

0000000000009798 <label_15FF>:
	v_mov_b32_e32 v36, v127                                    // 000000009798: 7E48037F
	v_mov_b32_e32 v37, v127                                    // 00000000979C: 7E4A037F
	v_mov_b32_e32 v38, v127                                    // 0000000097A0: 7E4C037F
	v_mov_b32_e32 v39, v127                                    // 0000000097A4: 7E4E037F
	s_branch label_161F                                        // 0000000097A8: BF82001B

00000000000097ac <label_1604>:
	v_cndmask_b32_e64 v40, v40, v127, s[60:61]                 // 0000000097AC: D1000028 00F2FF28
	s_lshl_b32 s60, s60, 1                                     // 0000000097B4: 8E3C813C
	s_lshl_b32 s61, s61, 1                                     // 0000000097B8: 8E3D813D
	s_and_b32 s60, 0xfffeffff, s60                             // 0000000097BC: 863C3CFF FFFEFFFF
	s_and_b32 s61, 0xfffeffff, s61                             // 0000000097C4: 863D3DFF FFFEFFFF
	v_cndmask_b32_e64 v41, v41, v127, s[60:61]                 // 0000000097CC: D1000029 00F2FF29
	s_lshl_b32 s60, s60, 1                                     // 0000000097D4: 8E3C813C
	s_lshl_b32 s61, s61, 1                                     // 0000000097D8: 8E3D813D
	s_and_b32 s60, 0xfffeffff, s60                             // 0000000097DC: 863C3CFF FFFEFFFF
	s_and_b32 s61, 0xfffeffff, s61                             // 0000000097E4: 863D3DFF FFFEFFFF
	v_cndmask_b32_e64 v42, v42, v127, s[60:61]                 // 0000000097EC: D100002A 00F2FF2A
	s_lshl_b32 s60, s60, 1                                     // 0000000097F4: 8E3C813C
	s_lshl_b32 s61, s61, 1                                     // 0000000097F8: 8E3D813D
	s_and_b32 s60, 0xfffeffff, s60                             // 0000000097FC: 863C3CFF FFFEFFFF
	s_and_b32 s61, 0xfffeffff, s61                             // 000000009804: 863D3DFF FFFEFFFF
	v_cndmask_b32_e64 v43, v43, v127, s[60:61]                 // 00000000980C: D100002B 00F2FF2B
	s_branch label_163F                                        // 000000009814: BF820020

0000000000009818 <label_161F>:
	v_mov_b32_e32 v40, v127                                    // 000000009818: 7E50037F
	v_mov_b32_e32 v41, v127                                    // 00000000981C: 7E52037F
	v_mov_b32_e32 v42, v127                                    // 000000009820: 7E54037F
	v_mov_b32_e32 v43, v127                                    // 000000009824: 7E56037F
	s_branch label_163F                                        // 000000009828: BF82001B

000000000000982c <label_1624>:
	v_cndmask_b32_e64 v44, v44, v127, s[60:61]                 // 00000000982C: D100002C 00F2FF2C
	s_lshl_b32 s60, s60, 1                                     // 000000009834: 8E3C813C
	s_lshl_b32 s61, s61, 1                                     // 000000009838: 8E3D813D
	s_and_b32 s60, 0xfffeffff, s60                             // 00000000983C: 863C3CFF FFFEFFFF
	s_and_b32 s61, 0xfffeffff, s61                             // 000000009844: 863D3DFF FFFEFFFF
	v_cndmask_b32_e64 v45, v45, v127, s[60:61]                 // 00000000984C: D100002D 00F2FF2D
	s_lshl_b32 s60, s60, 1                                     // 000000009854: 8E3C813C
	s_lshl_b32 s61, s61, 1                                     // 000000009858: 8E3D813D
	s_and_b32 s60, 0xfffeffff, s60                             // 00000000985C: 863C3CFF FFFEFFFF
	s_and_b32 s61, 0xfffeffff, s61                             // 000000009864: 863D3DFF FFFEFFFF
	v_cndmask_b32_e64 v46, v46, v127, s[60:61]                 // 00000000986C: D100002E 00F2FF2E
	s_lshl_b32 s60, s60, 1                                     // 000000009874: 8E3C813C
	s_lshl_b32 s61, s61, 1                                     // 000000009878: 8E3D813D
	s_and_b32 s60, 0xfffeffff, s60                             // 00000000987C: 863C3CFF FFFEFFFF
	s_and_b32 s61, 0xfffeffff, s61                             // 000000009884: 863D3DFF FFFEFFFF
	v_cndmask_b32_e64 v47, v47, v127, s[60:61]                 // 00000000988C: D100002F 00F2FF2F
	s_branch label_1644                                        // 000000009894: BF820005

0000000000009898 <label_163F>:
	v_mov_b32_e32 v44, v127                                    // 000000009898: 7E58037F
	v_mov_b32_e32 v45, v127                                    // 00000000989C: 7E5A037F
	v_mov_b32_e32 v46, v127                                    // 0000000098A0: 7E5C037F
	v_mov_b32_e32 v47, v127                                    // 0000000098A4: 7E5E037F
	s_branch label_1644                                        // 0000000098A8: BF820000

00000000000098ac <label_1644>:
	s_cmp_lt_i32 s64, 0xc0                                     // 0000000098AC: BF04FF40 000000C0
	s_cbranch_scc0 label_1699                                  // 0000000098B4: BF84004D
	s_cmp_le_i32 s64, 64                                       // 0000000098B8: BF05C040
	s_cbranch_scc1 label_1650                                  // 0000000098BC: BF850007
	s_cmp_le_i32 s64, 0x80                                     // 0000000098C0: BF05FF40 00000080
	s_cbranch_scc1 label_1668                                  // 0000000098C8: BF850017
	s_cmp_lt_i32 s64, 0xc0                                     // 0000000098CC: BF04FF40 000000C0
	s_cbranch_scc1 label_1680                                  // 0000000098D4: BF85002C
	s_branch label_1699                                        // 0000000098D8: BF820044

00000000000098dc <label_1650>:
	s_mov_b32 s60, 0                                           // 0000000098DC: BEBC0080
	v_and_b32_e32 v32, 15, v0                                  // 0000000098E0: 2640008F
	v_add_u32_e64 v32, v32, s60                                // 0000000098E4: D1340020 00007920
	v_mul_i32_i24_e64 v33, s46, 16                             // 0000000098EC: D1060021 0001202E
	v_add_u32_e32 v32, v32, v33                                // 0000000098F4: 68404320
	v_cmp_lt_u32_e64 s[60:61], v32, s64                        // 0000000098F8: D0C9003C 00008120
	s_nop 1                                                    // 000000009900: BF800001
	v_cndmask_b32_e64 v36, v127, v36, s[60:61]                 // 000000009904: D1000024 00F2497F
	v_cndmask_b32_e64 v37, v127, v37, s[60:61]                 // 00000000990C: D1000025 00F24B7F
	v_cndmask_b32_e64 v38, v127, v38, s[60:61]                 // 000000009914: D1000026 00F24D7F
	v_cndmask_b32_e64 v39, v127, v39, s[60:61]                 // 00000000991C: D1000027 00F24F7F
	s_branch label_167B                                        // 000000009924: BF820013

0000000000009928 <label_1668>:
	s_mov_b32 s60, 64                                          // 000000009928: BEBC00C0
	v_and_b32_e32 v32, 15, v0                                  // 00000000992C: 2640008F
	v_add_u32_e64 v32, v32, s60                                // 000000009930: D1340020 00007920
	v_mul_i32_i24_e64 v33, s46, 16                             // 000000009938: D1060021 0001202E
	v_add_u32_e32 v32, v32, v33                                // 000000009940: 68404320
	v_cmp_lt_u32_e64 s[60:61], v32, s64                        // 000000009944: D0C9003C 00008120
	s_nop 1                                                    // 00000000994C: BF800001
	v_cndmask_b32_e64 v40, v127, v40, s[60:61]                 // 000000009950: D1000028 00F2517F
	v_cndmask_b32_e64 v41, v127, v41, s[60:61]                 // 000000009958: D1000029 00F2537F
	v_cndmask_b32_e64 v42, v127, v42, s[60:61]                 // 000000009960: D100002A 00F2557F
	v_cndmask_b32_e64 v43, v127, v43, s[60:61]                 // 000000009968: D100002B 00F2577F
	s_branch label_1694                                        // 000000009970: BF820019

0000000000009974 <label_167B>:
	v_mov_b32_e32 v40, v127                                    // 000000009974: 7E50037F
	v_mov_b32_e32 v41, v127                                    // 000000009978: 7E52037F
	v_mov_b32_e32 v42, v127                                    // 00000000997C: 7E54037F
	v_mov_b32_e32 v43, v127                                    // 000000009980: 7E56037F
	s_branch label_1694                                        // 000000009984: BF820014

0000000000009988 <label_1680>:
	s_mov_b32 s60, 0x80                                        // 000000009988: BEBC00FF 00000080
	v_and_b32_e32 v32, 15, v0                                  // 000000009990: 2640008F
	v_add_u32_e64 v32, v32, s60                                // 000000009994: D1340020 00007920
	v_mul_i32_i24_e64 v33, s46, 16                             // 00000000999C: D1060021 0001202E
	v_add_u32_e32 v32, v32, v33                                // 0000000099A4: 68404320
	v_cmp_lt_u32_e64 s[60:61], v32, s64                        // 0000000099A8: D0C9003C 00008120
	s_nop 1                                                    // 0000000099B0: BF800001
	v_cndmask_b32_e64 v44, v127, v44, s[60:61]                 // 0000000099B4: D100002C 00F2597F
	v_cndmask_b32_e64 v45, v127, v45, s[60:61]                 // 0000000099BC: D100002D 00F25B7F
	v_cndmask_b32_e64 v46, v127, v46, s[60:61]                 // 0000000099C4: D100002E 00F25D7F
	v_cndmask_b32_e64 v47, v127, v47, s[60:61]                 // 0000000099CC: D100002F 00F25F7F
	s_branch label_1699                                        // 0000000099D4: BF820005

00000000000099d8 <label_1694>:
	v_mov_b32_e32 v44, v127                                    // 0000000099D8: 7E58037F
	v_mov_b32_e32 v45, v127                                    // 0000000099DC: 7E5A037F
	v_mov_b32_e32 v46, v127                                    // 0000000099E0: 7E5C037F
	v_mov_b32_e32 v47, v127                                    // 0000000099E4: 7E5E037F
	s_branch label_1699                                        // 0000000099E8: BF820000

00000000000099ec <label_1699>:
	s_addk_i32 s74, 0x1                                        // 0000000099EC: B74A0001
	s_waitcnt lgkmcnt(8)                                       // 0000000099F0: BF8CC87F
	v_mfma_f32_16x16x32_f16 v[60:63], v[72:75], a[64:67], 0    // 0000000099F4: D3D4003C 12028148
	v_exp_f32_e32 v36, v36                                     // 0000000099FC: 7E484124
	v_exp_f32_e32 v37, v37                                     // 000000009A00: 7E4A4125
	v_mfma_f32_16x16x32_f16 v[60:63], v[76:79], a[68:71], v[60:63]// 000000009A04: D3D4003C 14F2894C
	v_exp_f32_e32 v38, v38                                     // 000000009A0C: 7E4C4126
	v_exp_f32_e32 v39, v39                                     // 000000009A10: 7E4E4127
	v_mfma_f32_16x16x32_f16 v[60:63], v[80:83], a[72:75], v[60:63]// 000000009A14: D3D4003C 14F29150
	v_fma_f32 v44, v44, s57, -v104                             // 000000009A1C: D1CB002C 85A0732C
	v_fma_f32 v45, v45, s57, -v105                             // 000000009A24: D1CB002D 85A4732D
	v_exp_f32_e32 v40, v40                                     // 000000009A2C: 7E504128
	v_exp_f32_e32 v41, v41                                     // 000000009A30: 7E524129
	buffer_atomic_pk_add_f16 v108, v7, s[32:35], 0 offen       // 000000009A34: E1381000 80086C07
	v_mfma_f32_16x16x32_f16 v[60:63], v[84:87], a[76:79], v[60:63]// 000000009A3C: D3D4003C 14F29954
	ds_read_b64_tr_b16 v[224:225], v13 offset:12288            // 000000009A44: D9C63000 E000000D
	ds_read_b64_tr_b16 v[226:227], v13 offset:12544            // 000000009A4C: D9C63100 E200000D
	ds_read_b64_tr_b16 v[228:229], v13 offset:13312            // 000000009A54: D9C63400 E400000D
	ds_read_b64_tr_b16 v[230:231], v13 offset:13568            // 000000009A5C: D9C63500 E600000D
	v_mfma_f32_16x16x32_f16 v[64:67], v[72:75], a[80:83], 0    // 000000009A64: D3D40040 1202A148
	v_fma_f32 v46, v46, s57, -v106                             // 000000009A6C: D1CB002E 85A8732E
	v_fma_f32 v47, v47, s57, -v107                             // 000000009A74: D1CB002F 85AC732F
	v_exp_f32_e32 v42, v42                                     // 000000009A7C: 7E54412A
	v_exp_f32_e32 v43, v43                                     // 000000009A80: 7E56412B
	v_mfma_f32_16x16x32_f16 v[64:67], v[76:79], a[84:87], v[64:67]// 000000009A84: D3D40040 1502A94C
	ds_read_b64_tr_b16 v[232:233], v13 offset:14336            // 000000009A8C: D9C63800 E800000D
	ds_read_b64_tr_b16 v[234:235], v13 offset:14592            // 000000009A94: D9C63900 EA00000D
	ds_read_b64_tr_b16 v[236:237], v13 offset:15360            // 000000009A9C: D9C63C00 EC00000D
	ds_read_b64_tr_b16 v[238:239], v13 offset:15616            // 000000009AA4: D9C63D00 EE00000D
	v_mfma_f32_16x16x32_f16 v[64:67], v[80:83], a[88:91], v[64:67]// 000000009AAC: D3D40040 1502B150
	v_exp_f32_e32 v44, v44                                     // 000000009AB4: 7E58412C
	v_exp_f32_e32 v45, v45                                     // 000000009AB8: 7E5A412D
	v_mfma_f32_16x16x32_f16 v[64:67], v[84:87], a[92:95], v[64:67]// 000000009ABC: D3D40040 1502B954
	v_cvt_pk_f16_f32 v120, v36, v37                            // 000000009AC4: D2670078 00024B24
	v_cvt_pk_f16_f32 v121, v38, v39                            // 000000009ACC: D2670079 00024F26
	v_cvt_pk_f16_f32 v122, v40, v41                            // 000000009AD4: D267007A 00025328
	v_cvt_pk_f16_f32 v123, v42, v43                            // 000000009ADC: D267007B 0002572A
	v_mfma_f32_16x16x32_f16 v[68:71], v[72:75], a[96:99], 0    // 000000009AE4: D3D40044 1202C148
	v_exp_f32_e32 v46, v46                                     // 000000009AEC: 7E5C412E
	v_exp_f32_e32 v47, v47                                     // 000000009AF0: 7E5E412F
	v_mfma_f32_16x16x32_f16 v[68:71], v[76:79], a[100:103], v[68:71]// 000000009AF4: D3D40044 1512C94C
	v_permlane16_swap_b32_e32 v120, v122                       // 000000009AFC: 7EF0B37A
	v_permlane16_swap_b32_e32 v121, v123                       // 000000009B00: 7EF2B37B
	v_mfma_f32_16x16x32_f16 v[68:71], v[80:83], a[104:107], v[68:71]// 000000009B04: D3D40044 1512D150
	v_cvt_pk_f16_f32 v124, v44, v45                            // 000000009B0C: D267007C 00025B2C
	v_cvt_pk_f16_f32 v125, v46, v47                            // 000000009B14: D267007D 00025F2E
	buffer_atomic_pk_add_f16 v109, v7, s[32:35], 0 offen offset:768// 000000009B1C: E1381300 80086D07
	v_mfma_f32_16x16x32_f16 v[68:71], v[84:87], a[108:111], v[68:71]// 000000009B24: D3D40044 1512D954
	ds_read_b64_tr_b16 v[240:241], v13 offset:16384            // 000000009B2C: D9C64000 F000000D
	ds_read_b64_tr_b16 v[242:243], v13 offset:16640            // 000000009B34: D9C64100 F200000D
	ds_read_b64_tr_b16 v[244:245], v13 offset:17408            // 000000009B3C: D9C64400 F400000D
	ds_read_b64_tr_b16 v[246:247], v13 offset:17664            // 000000009B44: D9C64500 F600000D
	s_waitcnt lgkmcnt(12)                                      // 000000009B4C: BF8CCC7F
	v_mfma_f32_32x32x16_f16 v[128:143], v[88:91], v[120:123], v[128:143]// 000000009B50: D3D50080 0602F158
	v_subrev_f32_dpp v60, v126, v60 quad_perm:[0,0,0,0] row_mask:0xf bank_mask:0xf// 000000009B58: 067878FA FF00007E
	v_subrev_f32_dpp v61, v126, v61 quad_perm:[1,1,1,1] row_mask:0xf bank_mask:0xf// 000000009B60: 067A7AFA FF00557E
	v_subrev_f32_dpp v62, v126, v62 quad_perm:[2,2,2,2] row_mask:0xf bank_mask:0xf// 000000009B68: 067C7CFA FF00AA7E
	v_subrev_f32_dpp v63, v126, v63 quad_perm:[3,3,3,3] row_mask:0xf bank_mask:0xf// 000000009B70: 067E7EFA FF00FF7E
	v_subrev_f32_dpp v64, v126, v64 quad_perm:[0,0,0,0] row_mask:0xf bank_mask:0xf// 000000009B78: 068080FA FF00007E
	v_subrev_f32_dpp v65, v126, v65 quad_perm:[1,1,1,1] row_mask:0xf bank_mask:0xf// 000000009B80: 068282FA FF00557E
	v_subrev_f32_dpp v66, v126, v66 quad_perm:[2,2,2,2] row_mask:0xf bank_mask:0xf// 000000009B88: 068484FA FF00AA7E
	v_subrev_f32_dpp v67, v126, v67 quad_perm:[3,3,3,3] row_mask:0xf bank_mask:0xf// 000000009B90: 068686FA FF00FF7E
	v_mul_f32_e32 v60, v36, v60                                // 000000009B98: 0A787924
	v_mul_f32_e32 v61, v37, v61                                // 000000009B9C: 0A7A7B25
	v_mul_f32_e32 v62, v38, v62                                // 000000009BA0: 0A7C7D26
	v_mul_f32_e32 v63, v39, v63                                // 000000009BA4: 0A7E7F27
	v_mfma_f32_32x32x16_f16 v[144:159], v[92:95], v[120:123], v[144:159]// 000000009BA8: D3D50090 0642F15C
	ds_read_b64_tr_b16 a[0:1], v19                             // 000000009BB0: DBC60000 00000013
	ds_read_b64_tr_b16 a[2:3], v19 offset:256                  // 000000009BB8: DBC60100 02000013
	ds_read_b64_tr_b16 a[4:5], v19 offset:12288                // 000000009BC0: DBC63000 04000013
	ds_read_b64_tr_b16 a[6:7], v19 offset:12544                // 000000009BC8: DBC63100 06000013
	ds_read_b64_tr_b16 a[8:9], v19 offset:24576                // 000000009BD0: DBC66000 08000013
	buffer_atomic_pk_add_f16 v110, v8, s[32:35], 0 offen       // 000000009BD8: E1381000 80086E08
	v_mfma_f32_32x32x16_f16 v[160:175], v[96:99], v[120:123], v[160:175]// 000000009BE0: D3D500A0 0682F160
	v_mul_f32_e32 v64, v40, v64                                // 000000009BE8: 0A808128
	v_mul_f32_e32 v65, v41, v65                                // 000000009BEC: 0A828329
	v_mul_f32_e32 v66, v42, v66                                // 000000009BF0: 0A84852A
	v_mul_f32_e32 v67, v43, v67                                // 000000009BF4: 0A86872B
	v_permlane16_swap_b32_e32 v88, v90                         // 000000009BF8: 7EB0B35A
	v_permlane16_swap_b32_e32 v89, v91                         // 000000009BFC: 7EB2B35B
	v_cvt_pk_f16_f32 v60, v60, v61                             // 000000009C00: D267003C 00027B3C
	v_cvt_pk_f16_f32 v61, v62, v63                             // 000000009C08: D267003D 00027F3E
	v_cvt_pk_f16_f32 v62, v64, v65                             // 000000009C10: D267003E 00028340
	v_cvt_pk_f16_f32 v63, v66, v67                             // 000000009C18: D267003F 00028742
	v_permlane16_swap_b32_e32 v92, v94                         // 000000009C20: 7EB8B35E
	v_permlane16_swap_b32_e32 v93, v95                         // 000000009C24: 7EBAB35F
	v_mfma_f32_32x32x16_f16 v[176:191], v[100:103], v[120:123], v[176:191]// 000000009C28: D3D500B0 06C2F164
	ds_read_b64_tr_b16 a[10:11], v19 offset:24832              // 000000009C30: DBC66100 0A000013
	ds_read_b64_tr_b16 a[12:13], v19 offset:36864              // 000000009C38: DBC69000 0C000013
	ds_read_b64_tr_b16 a[14:15], v19 offset:37120              // 000000009C40: DBC69100 0E000013
	ds_read_b64_tr_b16 a[16:17], v19 offset:49152              // 000000009C48: DBC6C000 10000013
	ds_read_b64_tr_b16 a[18:19], v19 offset:49408              // 000000009C50: DBC6C100 12000013
	ds_read_b32 v104, v16 offset:37632                         // 000000009C58: D86C9300 68000010
	v_mfma_f32_16x16x16_f16 v[192:195], v[88:89], v[124:125], v[192:195]// 000000009C60: D3CD00C0 0702F958
	v_permlane16_swap_b32_e32 v96, v98                         // 000000009C68: 7EC0B362
	v_permlane16_swap_b32_e32 v97, v99                         // 000000009C6C: 7EC2B363
	v_subrev_f32_dpp v68, v126, v68 quad_perm:[0,0,0,0] row_mask:0xf bank_mask:0xf// 000000009C70: 068888FA FF00007E
	v_subrev_f32_dpp v69, v126, v69 quad_perm:[1,1,1,1] row_mask:0xf bank_mask:0xf// 000000009C78: 068A8AFA FF00557E
	v_mfma_f32_16x16x16_f16 v[196:199], v[90:91], v[124:125], v[196:199]// 000000009C80: D3CD00C4 0712F95A
	buffer_atomic_pk_add_f16 v111, v8, s[32:35], 0 offen offset:768// 000000009C88: E1381300 80086F08
	ds_write_b64 v15, v[60:61] offset:30720                    // 000000009C90: D89A7800 00003C0F
	ds_write_b64 v15, v[62:63] offset:33024                    // 000000009C98: D89A8100 00003E0F
	v_mfma_f32_16x16x16_f16 v[200:203], v[92:93], v[124:125], v[200:203]// 000000009CA0: D3CD00C8 0722F95C
	v_permlane16_swap_b32_e32 v100, v102                       // 000000009CA8: 7EC8B366
	v_permlane16_swap_b32_e32 v101, v103                       // 000000009CAC: 7ECAB367
	v_subrev_f32_dpp v70, v126, v70 quad_perm:[2,2,2,2] row_mask:0xf bank_mask:0xf// 000000009CB0: 068C8CFA FF00AA7E
	v_subrev_f32_dpp v71, v126, v71 quad_perm:[3,3,3,3] row_mask:0xf bank_mask:0xf// 000000009CB8: 068E8EFA FF00FF7E
	v_mfma_f32_16x16x16_f16 v[204:207], v[94:95], v[124:125], v[204:207]// 000000009CC0: D3CD00CC 0732F95E
	v_permlane16_swap_b32_e32 v60, v62                         // 000000009CC8: 7E78B33E
	v_permlane16_swap_b32_e32 v61, v63                         // 000000009CCC: 7E7AB33F
	v_mfma_f32_16x16x16_f16 v[208:211], v[96:97], v[124:125], v[208:211]// 000000009CD0: D3CD00D0 0742F960
	v_mul_f32_e32 v68, v44, v68                                // 000000009CD8: 0A88892C
	v_mul_f32_e32 v69, v45, v69                                // 000000009CDC: 0A8A8B2D
	v_mul_f32_e32 v70, v46, v70                                // 000000009CE0: 0A8C8D2E
	v_mfma_f32_16x16x16_f16 v[212:215], v[98:99], v[124:125], v[212:215]// 000000009CE4: D3CD00D4 0752F962
	ds_read_b64_tr_b16 a[20:21], v19 offset:61440              // 000000009CEC: DBC6F000 14000013
	ds_read_b64_tr_b16 a[22:23], v19 offset:61696              // 000000009CF4: DBC6F100 16000013
	ds_read_b64_tr_b16 a[24:25], v20                           // 000000009CFC: DBC60000 18000014
	v_mfma_f32_16x16x16_f16 v[216:219], v[100:101], v[124:125], v[216:219]// 000000009D04: D3CD00D8 0762F964
	v_mul_f32_e32 v71, v47, v71                                // 000000009D0C: 0A8E8F2F
	v_cvt_pk_f16_f32 v64, v68, v69                             // 000000009D10: D2670040 00028B44
	v_cvt_pk_f16_f32 v65, v70, v71                             // 000000009D18: D2670041 00028F46
	v_mfma_f32_16x16x16_f16 v[220:223], v[102:103], v[124:125], v[220:223]// 000000009D20: D3CD00DC 0772F966
	ds_read_b32 v126, v16 offset:37888                         // 000000009D28: D86C9400 7E000010
	ds_read_b64_tr_b16 a[26:27], v20 offset:256                // 000000009D30: DBC60100 1A000014
	ds_read_b64_tr_b16 a[28:29], v20 offset:12288              // 000000009D38: DBC63000 1C000014
	s_waitcnt lgkmcnt(8)                                       // 000000009D40: BF8CC87F
	v_mfma_f32_32x32x16_f16 a[112:127], v[224:227], v[60:63], a[112:127]// 000000009D44: D3D58070 05C279E0
	v_mul_f32_e32 v104, s48, v104                              // 000000009D4C: 0AD0D030
	buffer_atomic_pk_add_f16 v112, v9, s[32:35], 0 offen       // 000000009D50: E1381000 80087009
	v_mfma_f32_32x32x16_f16 a[128:143], v[228:231], v[60:63], a[128:143]// 000000009D58: D3D58080 060279E4
	ds_read_b64_tr_b16 a[30:31], v20 offset:12544              // 000000009D60: DBC63100 1E000014
	ds_write_b64 v15, v[64:65] offset:35328                    // 000000009D68: D89A8A00 0000400F
	ds_read_b64_tr_b16 a[32:33], v20 offset:24576              // 000000009D70: DBC66000 20000014
	ds_read_b64_tr_b16 a[34:35], v20 offset:24832              // 000000009D78: DBC66100 22000014
	v_mfma_f32_32x32x16_f16 a[144:159], v[232:235], v[60:63], a[144:159]// 000000009D80: D3D58090 064279E8
	.long 0x7fc0b3e2                                           // 000000009D88: 7FC0B3E2
	.long 0x7fc2b3e3                                           // 000000009D8C: 7FC2B3E3
	v_mfma_f32_32x32x16_f16 a[160:175], v[236:239], v[60:63], a[160:175]// 000000009D90: D3D580A0 068279EC
	ds_read_b64_tr_b16 a[36:37], v20 offset:36864              // 000000009D98: DBC69000 24000014
	ds_read_b64_tr_b16 a[38:39], v20 offset:37120              // 000000009DA0: DBC69100 26000014
	ds_read_b64_tr_b16 a[40:41], v20 offset:49152              // 000000009DA8: DBC6C000 28000014
	ds_read_b64_tr_b16 a[42:43], v20 offset:49408              // 000000009DB0: DBC6C100 2A000014
	ds_read_b64_tr_b16 a[44:45], v20 offset:61440              // 000000009DB8: DBC6F000 2C000014
	ds_read_b64_tr_b16 a[46:47], v20 offset:61696              // 000000009DC0: DBC6F100 2E000014
	s_waitcnt lgkmcnt(8)                                       // 000000009DC8: BF8CC87F
	s_barrier                                                  // 000000009DCC: BF8A0000
	v_mfma_f32_32x32x16_f16 a[176:191], v[240:243], v[60:63], a[176:191]// 000000009DD0: D3D580B0 06C279F0
	.long 0x7fc8b3e6                                           // 000000009DD8: 7FC8B3E6
	.long 0x7fcab3e7                                           // 000000009DDC: 7FCAB3E7
	v_mov_b32_dpp v107, v104 quad_perm:[3,3,3,3] row_mask:0xf bank_mask:0xf// 000000009DE0: 7ED602FA FF00FF68
	v_mov_b32_dpp v106, v104 quad_perm:[2,2,2,2] row_mask:0xf bank_mask:0xf// 000000009DE8: 7ED402FA FF00AA68
	v_mfma_f32_32x32x16_f16 a[192:207], v[244:247], v[60:63], a[192:207]// 000000009DF0: D3D580C0 070279F4
	ds_read_b64_tr_b16 v[36:37], v14 offset:30720              // 000000009DF8: D9C67800 2400000E
	ds_read_b64_tr_b16 v[38:39], v14 offset:30752              // 000000009E00: D9C67820 2600000E
	ds_read_b64_tr_b16 v[40:41], v14 offset:31872              // 000000009E08: D9C67C80 2800000E
	ds_read_b64_tr_b16 v[42:43], v14 offset:31904              // 000000009E10: D9C67CA0 2A00000E
	ds_read_b64_tr_b16 v[44:45], v14 offset:33024              // 000000009E18: D9C68100 2C00000E
	ds_read_b64_tr_b16 v[46:47], v14 offset:33056              // 000000009E20: D9C68120 2E00000E
	v_mfma_f32_16x16x16_f16 a[208:211], v[224:225], v[64:65], a[208:211]// 000000009E28: D3CD80D0 074281E0
	.long 0x7fd0b3ea                                           // 000000009E30: 7FD0B3EA
	.long 0x7fd2b3eb                                           // 000000009E34: 7FD2B3EB
	v_mfma_f32_16x16x16_f16 a[212:215], v[226:227], v[64:65], a[212:215]// 000000009E38: D3CD80D4 075281E2
	ds_read_b64_tr_b16 v[48:49], v14 offset:34176              // 000000009E40: D9C68580 3000000E
	ds_read_b64_tr_b16 v[50:51], v14 offset:34208              // 000000009E48: D9C685A0 3200000E
	ds_read_b64_tr_b16 v[52:53], v14 offset:35328              // 000000009E50: D9C68A00 3400000E
	v_mfma_f32_16x16x16_f16 a[216:219], v[228:229], v[64:65], a[216:219]// 000000009E58: D3CD80D8 076281E4
	v_permlane16_swap_b32_e32 v236, v238                       // 000000009E60: 7FD8B3EE
	v_permlane16_swap_b32_e32 v237, v239                       // 000000009E64: 7FDAB3EF
	v_mfma_f32_16x16x16_f16 a[220:223], v[230:231], v[64:65], a[220:223]// 000000009E68: D3CD80DC 077281E6
	ds_read_b64_tr_b16 v[54:55], v14 offset:35360              // 000000009E70: D9C68A20 3600000E
	ds_read_b64_tr_b16 v[56:57], v14 offset:36480              // 000000009E78: D9C68E80 3800000E
	ds_read_b64_tr_b16 v[58:59], v14 offset:36512              // 000000009E80: D9C68EA0 3A00000E
	v_mfma_f32_16x16x16_f16 a[224:227], v[232:233], v[64:65], a[224:227]// 000000009E88: D3CD80E0 078281E8
	v_permlane16_swap_b32_e32 v240, v242                       // 000000009E90: 7FE0B3F2
	v_permlane16_swap_b32_e32 v241, v243                       // 000000009E94: 7FE2B3F3
	v_mfma_f32_16x16x16_f16 a[228:231], v[234:235], v[64:65], a[228:231]// 000000009E98: D3CD80E4 079281EA
	ds_read_b64_tr_b16 a[48:49], v21                           // 000000009EA0: DBC60000 30000015
	ds_read_b64_tr_b16 a[50:51], v21 offset:256                // 000000009EA8: DBC60100 32000015
	ds_read_b64_tr_b16 a[52:53], v21 offset:12288              // 000000009EB0: DBC63000 34000015
	v_mfma_f32_16x16x16_f16 a[232:235], v[236:237], v[64:65], a[232:235]// 000000009EB8: D3CD80E8 07A281EC
	v_permlane16_swap_b32_e32 v244, v246                       // 000000009EC0: 7FE8B3F6
	v_permlane16_swap_b32_e32 v245, v247                       // 000000009EC4: 7FEAB3F7
	v_mfma_f32_16x16x16_f16 a[236:239], v[238:239], v[64:65], a[236:239]// 000000009EC8: D3CD80EC 07B281EE
	ds_read_b64_tr_b16 a[54:55], v21 offset:12544              // 000000009ED0: DBC63100 36000015
	ds_read_b64_tr_b16 a[56:57], v21 offset:24576              // 000000009ED8: DBC66000 38000015
	ds_read_b64_tr_b16 a[58:59], v21 offset:24832              // 000000009EE0: DBC66100 3A000015
	v_mfma_f32_16x16x16_f16 a[240:243], v[240:241], v[64:65], a[240:243]// 000000009EE8: D3CD80F0 07C281F0
	v_mov_b32_dpp v105, v104 quad_perm:[1,1,1,1] row_mask:0xf bank_mask:0xf// 000000009EF0: 7ED202FA FF005568
	buffer_atomic_pk_add_f16 v113, v9, s[32:35], 0 offen offset:768// 000000009EF8: E1381300 80087109
	v_mfma_f32_16x16x16_f16 a[244:247], v[242:243], v[64:65], a[244:247]// 000000009F00: D3CD80F4 07D281F2
	ds_read_b64_tr_b16 a[60:61], v21 offset:36864              // 000000009F08: DBC69000 3C000015
	ds_read_b64_tr_b16 a[62:63], v21 offset:37120              // 000000009F10: DBC69100 3E000015
	ds_read_b64_tr_b16 v[248:249], v21 offset:49152            // 000000009F18: D9C6C000 F8000015
	v_mfma_f32_16x16x16_f16 a[248:251], v[244:245], v[64:65], a[248:251]// 000000009F20: D3CD80F8 07E281F4
	v_mov_b32_dpp v104, v104 quad_perm:[0,0,0,0] row_mask:0xf bank_mask:0xf// 000000009F28: 7ED002FA FF000068
	v_mfma_f32_16x16x16_f16 a[252:255], v[246:247], v[64:65], a[252:255]// 000000009F30: D3CD80FC 07F281F6
	ds_read_b64_tr_b16 v[250:251], v21 offset:49408            // 000000009F38: D9C6C100 FA000015
	ds_read_b64_tr_b16 v[252:253], v21 offset:61440            // 000000009F40: D9C6F000 FC000015
	ds_read_b64_tr_b16 v[254:255], v21 offset:61696            // 000000009F48: D9C6F100 FE000015
	s_waitcnt vmcnt(6) lgkmcnt(6)                              // 000000009F50: BF8C0676
	s_barrier                                                  // 000000009F54: BF8A0000
	v_mfma_f32_16x16x32_f16 v[108:111], a[0:3], v[36:39], 0    // 000000009F58: D3D4006C 0A024900
	s_mov_b32 m0, s87                                          // 000000009F60: BEFC0057
	buffer_load_dwordx4 v1, s[8:11], 0 idxen lds               // 000000009F64: E05D2000 80020001
	v_mfma_f32_16x16x32_f16 v[108:111], a[4:7], v[40:43], v[108:111]// 000000009F6C: D3D4006C 0DB25104
	ds_read_b128 v[224:227], v12                               // 000000009F74: D9FE0000 E000000C
	ds_read_b128 v[228:231], v12 offset:1024                   // 000000009F7C: D9FE0400 E400000C
	v_mfma_f32_16x16x32_f16 v[108:111], a[8:11], v[44:47], v[108:111]// 000000009F84: D3D4006C 0DB25908
	s_mov_b32 m0, s88                                          // 000000009F8C: BEFC0058
	buffer_load_dword v2, s[8:11], 0 idxen lds                 // 000000009F90: E0512000 80020002
	v_mfma_f32_16x16x32_f16 v[108:111], a[12:15], v[48:51], v[108:111]// 000000009F98: D3D4006C 0DB2610C
	ds_read_b128 v[232:235], v12 offset:2048                   // 000000009FA0: D9FE0800 E800000C
	ds_read_b128 v[236:239], v12 offset:3072                   // 000000009FA8: D9FE0C00 EC00000C
	v_mfma_f32_16x16x32_f16 v[108:111], a[16:19], v[52:55], v[108:111]// 000000009FB0: D3D4006C 0DB26910
	s_mov_b32 m0, s89                                          // 000000009FB8: BEFC0059
	buffer_load_dword v3, s[8:11], 0 idxen lds                 // 000000009FBC: E0512000 80020003
	v_mfma_f32_16x16x32_f16 v[108:111], a[20:23], v[56:59], v[108:111]// 000000009FC4: D3D4006C 0DB27114
	ds_read_b128 v[240:243], v12 offset:4096                   // 000000009FCC: D9FE1000 F000000C
	ds_read_b128 v[244:247], v12 offset:5120                   // 000000009FD4: D9FE1400 F400000C
	v_mfma_f32_16x16x32_f16 v[112:115], a[24:27], v[36:39], 0  // 000000009FDC: D3D40070 0A024918
	s_mov_b32 m0, s92                                          // 000000009FE4: BEFC005C
	buffer_load_dwordx4 v4, s[20:23], 0 idxen lds              // 000000009FE8: E05D2000 80050004
	v_mfma_f32_16x16x32_f16 v[112:115], a[28:31], v[40:43], v[112:115]// 000000009FF0: D3D40070 0DC2511C
	ds_read_b128 a[0:3], v17                                   // 000000009FF8: DBFE0000 00000011
	ds_read_b128 a[4:7], v17 offset:1024                       // 00000000A000: DBFE0400 04000011
	v_mfma_f32_16x16x32_f16 v[112:115], a[32:35], v[44:47], v[112:115]// 00000000A008: D3D40070 0DC25920
	v_mul_f32_e32 v108, s47, v108                              // 00000000A010: 0AD8D82F
	v_mul_f32_e32 v109, s47, v109                              // 00000000A014: 0ADADA2F
	s_mov_b32 m0, s80                                          // 00000000A018: BEFC0050
	buffer_load_dword v11, s[24:27], 0 idxen lds               // 00000000A01C: E0512000 8006000B
	v_mfma_f32_16x16x32_f16 v[112:115], a[36:39], v[48:51], v[112:115]// 00000000A024: D3D40070 0DC26124
	ds_read_b128 a[8:11], v17 offset:2048                      // 00000000A02C: DBFE0800 08000011
	ds_read_b128 a[12:15], v17 offset:3072                     // 00000000A034: DBFE0C00 0C000011
	v_mfma_f32_16x16x32_f16 v[112:115], a[40:43], v[52:55], v[112:115]// 00000000A03C: D3D40070 0DC26928
	s_add_u32 s60, 64, s59                                     // 00000000A044: 803C3BC0
	s_cmp_lt_u32 s60, s58                                      // 00000000A048: BF0A3A3C
	s_cselect_b32 s68, s68, 0                                  // 00000000A04C: 85448044
	s_cselect_b32 s101, s101, 0                                // 00000000A050: 85658065
	s_cselect_b32 s69, s69, 0                                  // 00000000A054: 85458045
	v_mfma_f32_16x16x32_f16 v[112:115], a[44:47], v[56:59], v[112:115]// 00000000A058: D3D40070 0DC2712C
	ds_read_b128 a[16:19], v17 offset:4096                     // 00000000A060: DBFE1000 10000011
	ds_read_b128 a[20:23], v17 offset:5120                     // 00000000A068: DBFE1400 14000011
	v_mfma_f32_16x16x32_f16 v[116:119], a[48:51], v[36:39], 0  // 00000000A070: D3D40074 0A024930
	v_add_u32_e32 v1, s68, v1                                  // 00000000A078: 68020244
	v_add_u32_e32 v2, s68, v2                                  // 00000000A07C: 68040444
	v_add_u32_e32 v3, s68, v3                                  // 00000000A080: 68060644
	v_add_u32_e32 v4, s101, v4                                 // 00000000A084: 68080865
	v_add_u32_e32 v11, s69, v11                                // 00000000A088: 68161645
	v_mfma_f32_16x16x32_f16 v[116:119], a[52:55], v[40:43], v[116:119]// 00000000A08C: D3D40074 0DD25134
	ds_read_b128 a[24:27], v17 offset:24576                    // 00000000A094: DBFE6000 18000011
	ds_read_b128 a[28:31], v17 offset:25600                    // 00000000A09C: DBFE6400 1C000011
	s_waitcnt lgkmcnt(14)                                      // 00000000A0A4: BF8CCE7F
	v_mfma_f32_16x16x32_f16 v[116:119], a[56:59], v[44:47], v[116:119]// 00000000A0A8: D3D40074 0DD25938
	v_mul_f32_e32 v110, s47, v110                              // 00000000A0B0: 0ADCDC2F
	v_mul_f32_e32 v111, s47, v111                              // 00000000A0B4: 0ADEDE2F
	s_cmp_ge_u32 s59, s73                                      // 00000000A0B8: BF09493B
	s_cselect_b32 s66, s67, s66                                // 00000000A0BC: 85424243
	v_mfma_f32_16x16x32_f16 v[116:119], a[60:63], v[48:51], v[116:119]// 00000000A0C0: D3D40074 0DD2613C
	ds_read_b128 a[32:35], v17 offset:26624                    // 00000000A0C8: DBFE6800 20000011
	ds_read_b128 a[36:39], v17 offset:27648                    // 00000000A0D0: DBFE6C00 24000011
	v_mfma_f32_16x16x32_f16 v[116:119], v[248:251], v[52:55], v[116:119]// 00000000A0D8: D3D40074 05D269F8
	s_addk_i32 s59, 0x10                                       // 00000000A0E0: B73B0010
	v_mul_f32_e32 v112, s47, v112                              // 00000000A0E4: 0AE0E02F
	v_mul_f32_e32 v113, s47, v113                              // 00000000A0E8: 0AE2E22F
	s_cmp_lt_i32 s59, s58                                      // 00000000A0EC: BF043A3B
	v_mfma_f32_16x16x32_f16 v[116:119], v[252:255], v[56:59], v[116:119]// 00000000A0F0: D3D40074 05D271FC
	ds_read_b128 a[40:43], v17 offset:28672                    // 00000000A0F8: DBFE7000 28000011
	ds_read_b128 a[44:47], v17 offset:29696                    // 00000000A100: DBFE7400 2C000011
	s_cbranch_scc0 label_0F4C                                  // 00000000A108: BF84F6FA
	s_branch label_0F4F                                        // 00000000A10C: BF82F6FC

000000000000a110 <label_1862>:
	v_lshlrev_b32_e32 v24, 1, v0                               // 00000000A110: 24300081
	s_mul_i32 s60, s46, 0xcc0                                  // 00000000A114: 923CFF2E 00000CC0
	v_add_u32_e32 v24, s60, v24                                // 00000000A11C: 6830303C
	v_lshlrev_b32_e32 v24, 2, v24                              // 00000000A120: 24303082
	v_lshlrev_b32_e32 v25, 1, v0                               // 00000000A124: 24320081
	v_lshrrev_b32_e32 v32, 5, v0                               // 00000000A128: 20400085
	v_mul_i32_i24_e32 v32, 8, v32                              // 00000000A12C: 0C404088
	v_add_u32_e32 v25, v32, v25                                // 00000000A130: 68323320
	s_mul_i32 s60, s46, 0x6c0                                  // 00000000A134: 923CFF2E 000006C0
	v_add_u32_e32 v25, s60, v25                                // 00000000A13C: 6832323C
	v_lshlrev_b32_e32 v25, 2, v25                              // 00000000A140: 24323282
	v_mul_f32_e32 v114, s47, v114                              // 00000000A144: 0AE4E42F
	v_mul_f32_e32 v115, s47, v115                              // 00000000A148: 0AE6E62F
	v_mul_f32_e32 v116, s47, v116                              // 00000000A14C: 0AE8E82F
	v_mul_f32_e32 v117, s47, v117                              // 00000000A150: 0AEAEA2F
	v_mul_f32_e32 v118, s47, v118                              // 00000000A154: 0AECEC2F
	v_mul_f32_e32 v119, s47, v119                              // 00000000A158: 0AEEEE2F
	v_cvt_pk_f16_f32 v108, v108, v109                          // 00000000A15C: D267006C 0002DB6C
	v_cvt_pk_f16_f32 v109, v110, v111                          // 00000000A164: D267006D 0002DF6E
	v_cvt_pk_f16_f32 v110, v112, v113                          // 00000000A16C: D267006E 0002E370
	v_cvt_pk_f16_f32 v111, v114, v115                          // 00000000A174: D267006F 0002E772
	v_cvt_pk_f16_f32 v112, v116, v117                          // 00000000A17C: D2670070 0002EB74
	v_cvt_pk_f16_f32 v113, v118, v119                          // 00000000A184: D2670071 0002EF76
	v_add_u32_e32 v7, s66, v7                                  // 00000000A18C: 680E0E42
	v_add_u32_e32 v8, s66, v8                                  // 00000000A190: 68101042
	v_add_u32_e32 v9, s66, v9                                  // 00000000A194: 68121242
	buffer_atomic_pk_add_f16 v108, v7, s[32:35], 0 offen       // 00000000A198: E1381000 80086C07
	buffer_atomic_pk_add_f16 v109, v7, s[32:35], 0 offen offset:768// 00000000A1A0: E1381300 80086D07
	buffer_atomic_pk_add_f16 v110, v8, s[32:35], 0 offen       // 00000000A1A8: E1381000 80086E08
	buffer_atomic_pk_add_f16 v111, v8, s[32:35], 0 offen offset:768// 00000000A1B0: E1381300 80086F08
	buffer_atomic_pk_add_f16 v112, v9, s[32:35], 0 offen       // 00000000A1B8: E1381000 80087009
	buffer_atomic_pk_add_f16 v113, v9, s[32:35], 0 offen offset:768// 00000000A1C0: E1381300 80087109
	v_lshrrev_b32_e32 v32, 3, v0                               // 00000000A1C8: 20400083
	v_mul_i32_i24_e32 v22, 2, v32                              // 00000000A1CC: 0C2C4082
	v_and_b32_e32 v32, 7, v0                                   // 00000000A1D0: 26400087
	v_mul_i32_i24_e32 v33, 0x88, v32                           // 00000000A1D4: 0C4240FF 00000088
	v_add_u32_e32 v22, v33, v22                                // 00000000A1DC: 682C2D21
	s_mul_i32 s60, s46, 0xcc0                                  // 00000000A1E0: 923CFF2E 00000CC0
	v_add_u32_e32 v22, s60, v22                                // 00000000A1E8: 682C2C3C
	v_lshlrev_b32_e32 v22, 2, v22                              // 00000000A1EC: 242C2C82
	v_lshrrev_b32_e32 v32, 3, v0                               // 00000000A1F0: 20400083
	v_mul_i32_i24_e32 v23, 2, v32                              // 00000000A1F4: 0C2E4082
	v_and_b32_e32 v32, 7, v0                                   // 00000000A1F8: 26400087
	v_mul_i32_i24_e32 v33, 0x48, v32                           // 00000000A1FC: 0C4240FF 00000048
	v_add_u32_e32 v23, v33, v23                                // 00000000A204: 682E2F21
	s_mul_i32 s60, s46, 0x6c0                                  // 00000000A208: 923CFF2E 000006C0
	v_add_u32_e32 v23, s60, v23                                // 00000000A210: 682E2E3C
	v_lshlrev_b32_e32 v23, 2, v23                              // 00000000A214: 242E2E82
	s_waitcnt vmcnt(0) expcnt(0) lgkmcnt(0)                    // 00000000A218: BF8C0000
	s_barrier                                                  // 00000000A21C: BF8A0000
	v_mov_b32_e32 v34, v128                                    // 00000000A220: 7E440380
	v_mov_b32_e32 v35, v129                                    // 00000000A224: 7E460381
	v_cvt_pk_f16_f32 v128, v34, v35                            // 00000000A228: D2670080 00024722
	v_mov_b32_e32 v34, v130                                    // 00000000A230: 7E440382
	v_mov_b32_e32 v35, v131                                    // 00000000A234: 7E460383
	v_cvt_pk_f16_f32 v129, v34, v35                            // 00000000A238: D2670081 00024722
	v_mov_b32_e32 v34, v132                                    // 00000000A240: 7E440384
	v_mov_b32_e32 v35, v133                                    // 00000000A244: 7E460385
	v_cvt_pk_f16_f32 v130, v34, v35                            // 00000000A248: D2670082 00024722
	v_mov_b32_e32 v34, v134                                    // 00000000A250: 7E440386
	v_mov_b32_e32 v35, v135                                    // 00000000A254: 7E460387
	v_cvt_pk_f16_f32 v131, v34, v35                            // 00000000A258: D2670083 00024722
	v_mov_b32_e32 v34, v136                                    // 00000000A260: 7E440388
	v_mov_b32_e32 v35, v137                                    // 00000000A264: 7E460389
	v_cvt_pk_f16_f32 v132, v34, v35                            // 00000000A268: D2670084 00024722
	v_mov_b32_e32 v34, v138                                    // 00000000A270: 7E44038A
	v_mov_b32_e32 v35, v139                                    // 00000000A274: 7E46038B
	v_cvt_pk_f16_f32 v133, v34, v35                            // 00000000A278: D2670085 00024722
	v_mov_b32_e32 v34, v140                                    // 00000000A280: 7E44038C
	v_mov_b32_e32 v35, v141                                    // 00000000A284: 7E46038D
	v_cvt_pk_f16_f32 v134, v34, v35                            // 00000000A288: D2670086 00024722
	v_mov_b32_e32 v34, v142                                    // 00000000A290: 7E44038E
	v_mov_b32_e32 v35, v143                                    // 00000000A294: 7E46038F
	v_cvt_pk_f16_f32 v135, v34, v35                            // 00000000A298: D2670087 00024722
	v_mov_b32_e32 v34, v144                                    // 00000000A2A0: 7E440390
	v_mov_b32_e32 v35, v145                                    // 00000000A2A4: 7E460391
	v_cvt_pk_f16_f32 v136, v34, v35                            // 00000000A2A8: D2670088 00024722
	v_mov_b32_e32 v34, v146                                    // 00000000A2B0: 7E440392
	v_mov_b32_e32 v35, v147                                    // 00000000A2B4: 7E460393
	v_cvt_pk_f16_f32 v137, v34, v35                            // 00000000A2B8: D2670089 00024722
	v_mov_b32_e32 v34, v148                                    // 00000000A2C0: 7E440394
	v_mov_b32_e32 v35, v149                                    // 00000000A2C4: 7E460395
	v_cvt_pk_f16_f32 v138, v34, v35                            // 00000000A2C8: D267008A 00024722
	v_mov_b32_e32 v34, v150                                    // 00000000A2D0: 7E440396
	v_mov_b32_e32 v35, v151                                    // 00000000A2D4: 7E460397
	v_cvt_pk_f16_f32 v139, v34, v35                            // 00000000A2D8: D267008B 00024722
	v_mov_b32_e32 v34, v152                                    // 00000000A2E0: 7E440398
	v_mov_b32_e32 v35, v153                                    // 00000000A2E4: 7E460399
	v_cvt_pk_f16_f32 v140, v34, v35                            // 00000000A2E8: D267008C 00024722
	v_mov_b32_e32 v34, v154                                    // 00000000A2F0: 7E44039A
	v_mov_b32_e32 v35, v155                                    // 00000000A2F4: 7E46039B
	v_cvt_pk_f16_f32 v141, v34, v35                            // 00000000A2F8: D267008D 00024722
	v_mov_b32_e32 v34, v156                                    // 00000000A300: 7E44039C
	v_mov_b32_e32 v35, v157                                    // 00000000A304: 7E46039D
	v_cvt_pk_f16_f32 v142, v34, v35                            // 00000000A308: D267008E 00024722
	v_mov_b32_e32 v34, v158                                    // 00000000A310: 7E44039E
	v_mov_b32_e32 v35, v159                                    // 00000000A314: 7E46039F
	v_cvt_pk_f16_f32 v143, v34, v35                            // 00000000A318: D267008F 00024722
	v_mov_b32_e32 v34, v160                                    // 00000000A320: 7E4403A0
	v_mov_b32_e32 v35, v161                                    // 00000000A324: 7E4603A1
	v_cvt_pk_f16_f32 v144, v34, v35                            // 00000000A328: D2670090 00024722
	v_mov_b32_e32 v34, v162                                    // 00000000A330: 7E4403A2
	v_mov_b32_e32 v35, v163                                    // 00000000A334: 7E4603A3
	v_cvt_pk_f16_f32 v145, v34, v35                            // 00000000A338: D2670091 00024722
	v_mov_b32_e32 v34, v164                                    // 00000000A340: 7E4403A4
	v_mov_b32_e32 v35, v165                                    // 00000000A344: 7E4603A5
	v_cvt_pk_f16_f32 v146, v34, v35                            // 00000000A348: D2670092 00024722
	v_mov_b32_e32 v34, v166                                    // 00000000A350: 7E4403A6
	v_mov_b32_e32 v35, v167                                    // 00000000A354: 7E4603A7
	v_cvt_pk_f16_f32 v147, v34, v35                            // 00000000A358: D2670093 00024722
	v_mov_b32_e32 v34, v168                                    // 00000000A360: 7E4403A8
	v_mov_b32_e32 v35, v169                                    // 00000000A364: 7E4603A9
	v_cvt_pk_f16_f32 v148, v34, v35                            // 00000000A368: D2670094 00024722
	v_mov_b32_e32 v34, v170                                    // 00000000A370: 7E4403AA
	v_mov_b32_e32 v35, v171                                    // 00000000A374: 7E4603AB
	v_cvt_pk_f16_f32 v149, v34, v35                            // 00000000A378: D2670095 00024722
	v_mov_b32_e32 v34, v172                                    // 00000000A380: 7E4403AC
	v_mov_b32_e32 v35, v173                                    // 00000000A384: 7E4603AD
	v_cvt_pk_f16_f32 v150, v34, v35                            // 00000000A388: D2670096 00024722
	v_mov_b32_e32 v34, v174                                    // 00000000A390: 7E4403AE
	v_mov_b32_e32 v35, v175                                    // 00000000A394: 7E4603AF
	v_cvt_pk_f16_f32 v151, v34, v35                            // 00000000A398: D2670097 00024722
	v_mov_b32_e32 v34, v176                                    // 00000000A3A0: 7E4403B0
	v_mov_b32_e32 v35, v177                                    // 00000000A3A4: 7E4603B1
	v_cvt_pk_f16_f32 v152, v34, v35                            // 00000000A3A8: D2670098 00024722
	v_mov_b32_e32 v34, v178                                    // 00000000A3B0: 7E4403B2
	v_mov_b32_e32 v35, v179                                    // 00000000A3B4: 7E4603B3
	v_cvt_pk_f16_f32 v153, v34, v35                            // 00000000A3B8: D2670099 00024722
	v_mov_b32_e32 v34, v180                                    // 00000000A3C0: 7E4403B4
	v_mov_b32_e32 v35, v181                                    // 00000000A3C4: 7E4603B5
	v_cvt_pk_f16_f32 v154, v34, v35                            // 00000000A3C8: D267009A 00024722
	v_mov_b32_e32 v34, v182                                    // 00000000A3D0: 7E4403B6
	v_mov_b32_e32 v35, v183                                    // 00000000A3D4: 7E4603B7
	v_cvt_pk_f16_f32 v155, v34, v35                            // 00000000A3D8: D267009B 00024722
	v_mov_b32_e32 v34, v184                                    // 00000000A3E0: 7E4403B8
	v_mov_b32_e32 v35, v185                                    // 00000000A3E4: 7E4603B9
	v_cvt_pk_f16_f32 v156, v34, v35                            // 00000000A3E8: D267009C 00024722
	v_mov_b32_e32 v34, v186                                    // 00000000A3F0: 7E4403BA
	v_mov_b32_e32 v35, v187                                    // 00000000A3F4: 7E4603BB
	v_cvt_pk_f16_f32 v157, v34, v35                            // 00000000A3F8: D267009D 00024722
	v_mov_b32_e32 v34, v188                                    // 00000000A400: 7E4403BC
	v_mov_b32_e32 v35, v189                                    // 00000000A404: 7E4603BD
	v_cvt_pk_f16_f32 v158, v34, v35                            // 00000000A408: D267009E 00024722
	v_mov_b32_e32 v34, v190                                    // 00000000A410: 7E4403BE
	v_mov_b32_e32 v35, v191                                    // 00000000A414: 7E4603BF
	v_cvt_pk_f16_f32 v159, v34, v35                            // 00000000A418: D267009F 00024722
	ds_write_b64 v24, v[128:129]                               // 00000000A420: D89A0000 00008018
	ds_write_b64 v24, v[130:131] offset:544                    // 00000000A428: D89A0220 00008218
	ds_write_b64 v24, v[132:133] offset:1088                   // 00000000A430: D89A0440 00008418
	ds_write_b64 v24, v[134:135] offset:1632                   // 00000000A438: D89A0660 00008618
	ds_write_b64 v24, v[136:137] offset:2176                   // 00000000A440: D89A0880 00008818
	ds_write_b64 v24, v[138:139] offset:2720                   // 00000000A448: D89A0AA0 00008A18
	ds_write_b64 v24, v[140:141] offset:3264                   // 00000000A450: D89A0CC0 00008C18
	ds_write_b64 v24, v[142:143] offset:3808                   // 00000000A458: D89A0EE0 00008E18
	ds_write_b64 v24, v[144:145] offset:4352                   // 00000000A460: D89A1100 00009018
	ds_write_b64 v24, v[146:147] offset:4896                   // 00000000A468: D89A1320 00009218
	ds_write_b64 v24, v[148:149] offset:5440                   // 00000000A470: D89A1540 00009418
	ds_write_b64 v24, v[150:151] offset:5984                   // 00000000A478: D89A1760 00009618
	ds_write_b64 v24, v[152:153] offset:6528                   // 00000000A480: D89A1980 00009818
	ds_write_b64 v24, v[154:155] offset:7072                   // 00000000A488: D89A1BA0 00009A18
	ds_write_b64 v24, v[156:157] offset:7616                   // 00000000A490: D89A1DC0 00009C18
	ds_write_b64 v24, v[158:159] offset:8160                   // 00000000A498: D89A1FE0 00009E18
	s_waitcnt lgkmcnt(0)                                       // 00000000A4A0: BF8CC07F
	s_barrier                                                  // 00000000A4A4: BF8A0000
	ds_read_b64 v[128:129], v22                                // 00000000A4A8: D8EC0000 80000016
	ds_read_b64 v[130:131], v22 offset:256                     // 00000000A4B0: D8EC0100 82000016
	ds_read_b64 v[132:133], v22 offset:4352                    // 00000000A4B8: D8EC1100 84000016
	ds_read_b64 v[134:135], v22 offset:4608                    // 00000000A4C0: D8EC1200 86000016
	ds_read_b64 v[136:137], v22 offset:64                      // 00000000A4C8: D8EC0040 88000016
	ds_read_b64 v[138:139], v22 offset:320                     // 00000000A4D0: D8EC0140 8A000016
	ds_read_b64 v[140:141], v22 offset:4416                    // 00000000A4D8: D8EC1140 8C000016
	ds_read_b64 v[142:143], v22 offset:4672                    // 00000000A4E0: D8EC1240 8E000016
	ds_read_b64 v[144:145], v22 offset:128                     // 00000000A4E8: D8EC0080 90000016
	ds_read_b64 v[146:147], v22 offset:384                     // 00000000A4F0: D8EC0180 92000016
	ds_read_b64 v[148:149], v22 offset:4480                    // 00000000A4F8: D8EC1180 94000016
	ds_read_b64 v[150:151], v22 offset:4736                    // 00000000A500: D8EC1280 96000016
	ds_read_b64 v[152:153], v22 offset:192                     // 00000000A508: D8EC00C0 98000016
	ds_read_b64 v[154:155], v22 offset:448                     // 00000000A510: D8EC01C0 9A000016
	ds_read_b64 v[156:157], v22 offset:4544                    // 00000000A518: D8EC11C0 9C000016
	ds_read_b64 v[158:159], v22 offset:4800                    // 00000000A520: D8EC12C0 9E000016
	s_waitcnt lgkmcnt(0)                                       // 00000000A528: BF8CC07F
	s_mov_b32 s70, s53                                         // 00000000A52C: BEC60035
	buffer_store_dwordx4 v[128:131], v6, s[40:43], 0 offen     // 00000000A530: E07C1000 800A8006
	buffer_store_dwordx4 v[132:135], v6, s[40:43], 0 offen offset:128// 00000000A538: E07C1080 800A8406
	s_mul_i32 s60, 8, s70                                      // 00000000A540: 923C4688
	v_add_u32_e32 v6, s60, v6                                  // 00000000A544: 680C0C3C
	buffer_store_dwordx4 v[136:139], v6, s[40:43], 0 offen     // 00000000A548: E07C1000 800A8806
	buffer_store_dwordx4 v[140:143], v6, s[40:43], 0 offen offset:128// 00000000A550: E07C1080 800A8C06
	s_mul_i32 s60, 8, s70                                      // 00000000A558: 923C4688
	v_add_u32_e32 v6, s60, v6                                  // 00000000A55C: 680C0C3C
	s_mul_i32 s60, 48, s70                                     // 00000000A560: 923C46B0
	v_add_u32_e32 v6, s60, v6                                  // 00000000A564: 680C0C3C
	buffer_store_dwordx4 v[144:147], v6, s[40:43], 0 offen     // 00000000A568: E07C1000 800A9006
	buffer_store_dwordx4 v[148:151], v6, s[40:43], 0 offen offset:128// 00000000A570: E07C1080 800A9406
	s_mul_i32 s60, 8, s70                                      // 00000000A578: 923C4688
	v_add_u32_e32 v6, s60, v6                                  // 00000000A57C: 680C0C3C
	buffer_store_dwordx4 v[152:155], v6, s[40:43], 0 offen     // 00000000A580: E07C1000 800A9806
	buffer_store_dwordx4 v[156:159], v6, s[40:43], 0 offen offset:128// 00000000A588: E07C1080 800A9C06
	s_mul_i32 s60, 8, s70                                      // 00000000A590: 923C4688
	v_add_u32_e32 v6, s60, v6                                  // 00000000A594: 680C0C3C
	s_mul_i32 s60, 48, s70                                     // 00000000A598: 923C46B0
	v_add_u32_e32 v6, s60, v6                                  // 00000000A59C: 680C0C3C
	s_barrier                                                  // 00000000A5A0: BF8A0000
	s_cmp_ge_i32 2, s72                                        // 00000000A5A4: BF034882
	s_cbranch_scc1 label_19FA                                  // 00000000A5A8: BF850071
	v_mov_b32_e32 v34, v192                                    // 00000000A5AC: 7E4403C0
	v_mov_b32_e32 v35, v193                                    // 00000000A5B0: 7E4603C1
	v_cvt_pk_f16_f32 v160, v34, v35                            // 00000000A5B4: D26700A0 00024722
	v_mov_b32_e32 v34, v194                                    // 00000000A5BC: 7E4403C2
	v_mov_b32_e32 v35, v195                                    // 00000000A5C0: 7E4603C3
	v_cvt_pk_f16_f32 v161, v34, v35                            // 00000000A5C4: D26700A1 00024722
	v_mov_b32_e32 v34, v196                                    // 00000000A5CC: 7E4403C4
	v_mov_b32_e32 v35, v197                                    // 00000000A5D0: 7E4603C5
	v_cvt_pk_f16_f32 v162, v34, v35                            // 00000000A5D4: D26700A2 00024722
	v_mov_b32_e32 v34, v198                                    // 00000000A5DC: 7E4403C6
	v_mov_b32_e32 v35, v199                                    // 00000000A5E0: 7E4603C7
	v_cvt_pk_f16_f32 v163, v34, v35                            // 00000000A5E4: D26700A3 00024722
	v_mov_b32_e32 v34, v200                                    // 00000000A5EC: 7E4403C8
	v_mov_b32_e32 v35, v201                                    // 00000000A5F0: 7E4603C9
	v_cvt_pk_f16_f32 v164, v34, v35                            // 00000000A5F4: D26700A4 00024722
	v_mov_b32_e32 v34, v202                                    // 00000000A5FC: 7E4403CA
	v_mov_b32_e32 v35, v203                                    // 00000000A600: 7E4603CB
	v_cvt_pk_f16_f32 v165, v34, v35                            // 00000000A604: D26700A5 00024722
	v_mov_b32_e32 v34, v204                                    // 00000000A60C: 7E4403CC
	v_mov_b32_e32 v35, v205                                    // 00000000A610: 7E4603CD
	v_cvt_pk_f16_f32 v166, v34, v35                            // 00000000A614: D26700A6 00024722
	v_mov_b32_e32 v34, v206                                    // 00000000A61C: 7E4403CE
	v_mov_b32_e32 v35, v207                                    // 00000000A620: 7E4603CF
	v_cvt_pk_f16_f32 v167, v34, v35                            // 00000000A624: D26700A7 00024722
	v_mov_b32_e32 v34, v208                                    // 00000000A62C: 7E4403D0
	v_mov_b32_e32 v35, v209                                    // 00000000A630: 7E4603D1
	v_cvt_pk_f16_f32 v168, v34, v35                            // 00000000A634: D26700A8 00024722
	v_mov_b32_e32 v34, v210                                    // 00000000A63C: 7E4403D2
	v_mov_b32_e32 v35, v211                                    // 00000000A640: 7E4603D3
	v_cvt_pk_f16_f32 v169, v34, v35                            // 00000000A644: D26700A9 00024722
	v_mov_b32_e32 v34, v212                                    // 00000000A64C: 7E4403D4
	v_mov_b32_e32 v35, v213                                    // 00000000A650: 7E4603D5
	v_cvt_pk_f16_f32 v170, v34, v35                            // 00000000A654: D26700AA 00024722
	v_mov_b32_e32 v34, v214                                    // 00000000A65C: 7E4403D6
	v_mov_b32_e32 v35, v215                                    // 00000000A660: 7E4603D7
	v_cvt_pk_f16_f32 v171, v34, v35                            // 00000000A664: D26700AB 00024722
	v_mov_b32_e32 v34, v216                                    // 00000000A66C: 7E4403D8
	v_mov_b32_e32 v35, v217                                    // 00000000A670: 7E4603D9
	v_cvt_pk_f16_f32 v172, v34, v35                            // 00000000A674: D26700AC 00024722
	v_mov_b32_e32 v34, v218                                    // 00000000A67C: 7E4403DA
	v_mov_b32_e32 v35, v219                                    // 00000000A680: 7E4603DB
	v_cvt_pk_f16_f32 v173, v34, v35                            // 00000000A684: D26700AD 00024722
	v_mov_b32_e32 v34, v220                                    // 00000000A68C: 7E4403DC
	v_mov_b32_e32 v35, v221                                    // 00000000A690: 7E4603DD
	v_cvt_pk_f16_f32 v174, v34, v35                            // 00000000A694: D26700AE 00024722
	v_mov_b32_e32 v34, v222                                    // 00000000A69C: 7E4403DE
	v_mov_b32_e32 v35, v223                                    // 00000000A6A0: 7E4603DF
	v_cvt_pk_f16_f32 v175, v34, v35                            // 00000000A6A4: D26700AF 00024722
	ds_write_b64 v25, v[160:161] offset:52224                  // 00000000A6AC: D89ACC00 0000A019
	ds_write_b64 v25, v[162:163] offset:52800                  // 00000000A6B4: D89ACE40 0000A219
	ds_write_b64 v25, v[164:165] offset:53376                  // 00000000A6BC: D89AD080 0000A419
	ds_write_b64 v25, v[166:167] offset:53952                  // 00000000A6C4: D89AD2C0 0000A619
	ds_write_b64 v25, v[168:169] offset:54528                  // 00000000A6CC: D89AD500 0000A819
	ds_write_b64 v25, v[170:171] offset:55104                  // 00000000A6D4: D89AD740 0000AA19
	ds_write_b64 v25, v[172:173] offset:55680                  // 00000000A6DC: D89AD980 0000AC19
	ds_write_b64 v25, v[174:175] offset:56256                  // 00000000A6E4: D89ADBC0 0000AE19
	s_waitcnt lgkmcnt(0)                                       // 00000000A6EC: BF8CC07F
	s_barrier                                                  // 00000000A6F0: BF8A0000
	ds_read_b64 v[160:161], v23 offset:52224                   // 00000000A6F4: D8ECCC00 A0000017
	ds_read_b64 v[162:163], v23 offset:52352                   // 00000000A6FC: D8ECCC80 A2000017
	ds_read_b64 v[164:165], v23 offset:54528                   // 00000000A704: D8ECD500 A4000017
	ds_read_b64 v[166:167], v23 offset:54656                   // 00000000A70C: D8ECD580 A6000017
	ds_read_b64 v[168:169], v23 offset:52288                   // 00000000A714: D8ECCC40 A8000017
	ds_read_b64 v[170:171], v23 offset:52416                   // 00000000A71C: D8ECCCC0 AA000017
	ds_read_b64 v[172:173], v23 offset:54592                   // 00000000A724: D8ECD540 AC000017
	ds_read_b64 v[174:175], v23 offset:54720                   // 00000000A72C: D8ECD5C0 AE000017
	s_waitcnt lgkmcnt(0)                                       // 00000000A734: BF8CC07F
	s_mov_b32 s70, s53                                         // 00000000A738: BEC60035
	buffer_store_dwordx4 v[160:163], v6, s[40:43], 0 offen     // 00000000A73C: E07C1000 800AA006
	buffer_store_dwordx4 v[164:167], v6, s[40:43], 0 offen offset:128// 00000000A744: E07C1080 800AA406
	s_mul_i32 s60, 8, s70                                      // 00000000A74C: 923C4688
	v_add_u32_e32 v6, s60, v6                                  // 00000000A750: 680C0C3C
	buffer_store_dwordx4 v[168:171], v6, s[40:43], 0 offen     // 00000000A754: E07C1000 800AA806
	buffer_store_dwordx4 v[172:175], v6, s[40:43], 0 offen offset:128// 00000000A75C: E07C1080 800AAC06
	s_mul_i32 s60, 8, s70                                      // 00000000A764: 923C4688
	v_add_u32_e32 v6, s60, v6                                  // 00000000A768: 680C0C3C
	s_barrier                                                  // 00000000A76C: BF8A0000

000000000000a770 <label_19FA>:
	v_accvgpr_read_b32 v34, a112                               // 00000000A770: D3D84022 18000170
	v_accvgpr_read_b32 v35, a113                               // 00000000A778: D3D84023 18000171
	v_mul_f32_e32 v34, s47, v34                                // 00000000A780: 0A44442F
	v_mul_f32_e32 v35, s47, v35                                // 00000000A784: 0A46462F
	v_cvt_pk_f16_f32 v128, v34, v35                            // 00000000A788: D2670080 00024722
	v_accvgpr_read_b32 v34, a114                               // 00000000A790: D3D84022 18000172
	v_accvgpr_read_b32 v35, a115                               // 00000000A798: D3D84023 18000173
	v_mul_f32_e32 v34, s47, v34                                // 00000000A7A0: 0A44442F
	v_mul_f32_e32 v35, s47, v35                                // 00000000A7A4: 0A46462F
	v_cvt_pk_f16_f32 v129, v34, v35                            // 00000000A7A8: D2670081 00024722
	v_accvgpr_read_b32 v34, a116                               // 00000000A7B0: D3D84022 18000174
	v_accvgpr_read_b32 v35, a117                               // 00000000A7B8: D3D84023 18000175
	v_mul_f32_e32 v34, s47, v34                                // 00000000A7C0: 0A44442F
	v_mul_f32_e32 v35, s47, v35                                // 00000000A7C4: 0A46462F
	v_cvt_pk_f16_f32 v130, v34, v35                            // 00000000A7C8: D2670082 00024722
	v_accvgpr_read_b32 v34, a118                               // 00000000A7D0: D3D84022 18000176
	v_accvgpr_read_b32 v35, a119                               // 00000000A7D8: D3D84023 18000177
	v_mul_f32_e32 v34, s47, v34                                // 00000000A7E0: 0A44442F
	v_mul_f32_e32 v35, s47, v35                                // 00000000A7E4: 0A46462F
	v_cvt_pk_f16_f32 v131, v34, v35                            // 00000000A7E8: D2670083 00024722
	v_accvgpr_read_b32 v34, a120                               // 00000000A7F0: D3D84022 18000178
	v_accvgpr_read_b32 v35, a121                               // 00000000A7F8: D3D84023 18000179
	v_mul_f32_e32 v34, s47, v34                                // 00000000A800: 0A44442F
	v_mul_f32_e32 v35, s47, v35                                // 00000000A804: 0A46462F
	v_cvt_pk_f16_f32 v132, v34, v35                            // 00000000A808: D2670084 00024722
	v_accvgpr_read_b32 v34, a122                               // 00000000A810: D3D84022 1800017A
	v_accvgpr_read_b32 v35, a123                               // 00000000A818: D3D84023 1800017B
	v_mul_f32_e32 v34, s47, v34                                // 00000000A820: 0A44442F
	v_mul_f32_e32 v35, s47, v35                                // 00000000A824: 0A46462F
	v_cvt_pk_f16_f32 v133, v34, v35                            // 00000000A828: D2670085 00024722
	v_accvgpr_read_b32 v34, a124                               // 00000000A830: D3D84022 1800017C
	v_accvgpr_read_b32 v35, a125                               // 00000000A838: D3D84023 1800017D
	v_mul_f32_e32 v34, s47, v34                                // 00000000A840: 0A44442F
	v_mul_f32_e32 v35, s47, v35                                // 00000000A844: 0A46462F
	v_cvt_pk_f16_f32 v134, v34, v35                            // 00000000A848: D2670086 00024722
	v_accvgpr_read_b32 v34, a126                               // 00000000A850: D3D84022 1800017E
	v_accvgpr_read_b32 v35, a127                               // 00000000A858: D3D84023 1800017F
	v_mul_f32_e32 v34, s47, v34                                // 00000000A860: 0A44442F
	v_mul_f32_e32 v35, s47, v35                                // 00000000A864: 0A46462F
	v_cvt_pk_f16_f32 v135, v34, v35                            // 00000000A868: D2670087 00024722
	v_accvgpr_read_b32 v34, a128                               // 00000000A870: D3D84022 18000180
	v_accvgpr_read_b32 v35, a129                               // 00000000A878: D3D84023 18000181
	v_mul_f32_e32 v34, s47, v34                                // 00000000A880: 0A44442F
	v_mul_f32_e32 v35, s47, v35                                // 00000000A884: 0A46462F
	v_cvt_pk_f16_f32 v136, v34, v35                            // 00000000A888: D2670088 00024722
	v_accvgpr_read_b32 v34, a130                               // 00000000A890: D3D84022 18000182
	v_accvgpr_read_b32 v35, a131                               // 00000000A898: D3D84023 18000183
	v_mul_f32_e32 v34, s47, v34                                // 00000000A8A0: 0A44442F
	v_mul_f32_e32 v35, s47, v35                                // 00000000A8A4: 0A46462F
	v_cvt_pk_f16_f32 v137, v34, v35                            // 00000000A8A8: D2670089 00024722
	v_accvgpr_read_b32 v34, a132                               // 00000000A8B0: D3D84022 18000184
	v_accvgpr_read_b32 v35, a133                               // 00000000A8B8: D3D84023 18000185
	v_mul_f32_e32 v34, s47, v34                                // 00000000A8C0: 0A44442F
	v_mul_f32_e32 v35, s47, v35                                // 00000000A8C4: 0A46462F
	v_cvt_pk_f16_f32 v138, v34, v35                            // 00000000A8C8: D267008A 00024722
	v_accvgpr_read_b32 v34, a134                               // 00000000A8D0: D3D84022 18000186
	v_accvgpr_read_b32 v35, a135                               // 00000000A8D8: D3D84023 18000187
	v_mul_f32_e32 v34, s47, v34                                // 00000000A8E0: 0A44442F
	v_mul_f32_e32 v35, s47, v35                                // 00000000A8E4: 0A46462F
	v_cvt_pk_f16_f32 v139, v34, v35                            // 00000000A8E8: D267008B 00024722
	v_accvgpr_read_b32 v34, a136                               // 00000000A8F0: D3D84022 18000188
	v_accvgpr_read_b32 v35, a137                               // 00000000A8F8: D3D84023 18000189
	v_mul_f32_e32 v34, s47, v34                                // 00000000A900: 0A44442F
	v_mul_f32_e32 v35, s47, v35                                // 00000000A904: 0A46462F
	v_cvt_pk_f16_f32 v140, v34, v35                            // 00000000A908: D267008C 00024722
	v_accvgpr_read_b32 v34, a138                               // 00000000A910: D3D84022 1800018A
	v_accvgpr_read_b32 v35, a139                               // 00000000A918: D3D84023 1800018B
	v_mul_f32_e32 v34, s47, v34                                // 00000000A920: 0A44442F
	v_mul_f32_e32 v35, s47, v35                                // 00000000A924: 0A46462F
	v_cvt_pk_f16_f32 v141, v34, v35                            // 00000000A928: D267008D 00024722
	v_accvgpr_read_b32 v34, a140                               // 00000000A930: D3D84022 1800018C
	v_accvgpr_read_b32 v35, a141                               // 00000000A938: D3D84023 1800018D
	v_mul_f32_e32 v34, s47, v34                                // 00000000A940: 0A44442F
	v_mul_f32_e32 v35, s47, v35                                // 00000000A944: 0A46462F
	v_cvt_pk_f16_f32 v142, v34, v35                            // 00000000A948: D267008E 00024722
	v_accvgpr_read_b32 v34, a142                               // 00000000A950: D3D84022 1800018E
	v_accvgpr_read_b32 v35, a143                               // 00000000A958: D3D84023 1800018F
	v_mul_f32_e32 v34, s47, v34                                // 00000000A960: 0A44442F
	v_mul_f32_e32 v35, s47, v35                                // 00000000A964: 0A46462F
	v_cvt_pk_f16_f32 v143, v34, v35                            // 00000000A968: D267008F 00024722
	v_accvgpr_read_b32 v34, a144                               // 00000000A970: D3D84022 18000190
	v_accvgpr_read_b32 v35, a145                               // 00000000A978: D3D84023 18000191
	v_mul_f32_e32 v34, s47, v34                                // 00000000A980: 0A44442F
	v_mul_f32_e32 v35, s47, v35                                // 00000000A984: 0A46462F
	v_cvt_pk_f16_f32 v144, v34, v35                            // 00000000A988: D2670090 00024722
	v_accvgpr_read_b32 v34, a146                               // 00000000A990: D3D84022 18000192
	v_accvgpr_read_b32 v35, a147                               // 00000000A998: D3D84023 18000193
	v_mul_f32_e32 v34, s47, v34                                // 00000000A9A0: 0A44442F
	v_mul_f32_e32 v35, s47, v35                                // 00000000A9A4: 0A46462F
	v_cvt_pk_f16_f32 v145, v34, v35                            // 00000000A9A8: D2670091 00024722
	v_accvgpr_read_b32 v34, a148                               // 00000000A9B0: D3D84022 18000194
	v_accvgpr_read_b32 v35, a149                               // 00000000A9B8: D3D84023 18000195
	v_mul_f32_e32 v34, s47, v34                                // 00000000A9C0: 0A44442F
	v_mul_f32_e32 v35, s47, v35                                // 00000000A9C4: 0A46462F
	v_cvt_pk_f16_f32 v146, v34, v35                            // 00000000A9C8: D2670092 00024722
	v_accvgpr_read_b32 v34, a150                               // 00000000A9D0: D3D84022 18000196
	v_accvgpr_read_b32 v35, a151                               // 00000000A9D8: D3D84023 18000197
	v_mul_f32_e32 v34, s47, v34                                // 00000000A9E0: 0A44442F
	v_mul_f32_e32 v35, s47, v35                                // 00000000A9E4: 0A46462F
	v_cvt_pk_f16_f32 v147, v34, v35                            // 00000000A9E8: D2670093 00024722
	v_accvgpr_read_b32 v34, a152                               // 00000000A9F0: D3D84022 18000198
	v_accvgpr_read_b32 v35, a153                               // 00000000A9F8: D3D84023 18000199
	v_mul_f32_e32 v34, s47, v34                                // 00000000AA00: 0A44442F
	v_mul_f32_e32 v35, s47, v35                                // 00000000AA04: 0A46462F
	v_cvt_pk_f16_f32 v148, v34, v35                            // 00000000AA08: D2670094 00024722
	v_accvgpr_read_b32 v34, a154                               // 00000000AA10: D3D84022 1800019A
	v_accvgpr_read_b32 v35, a155                               // 00000000AA18: D3D84023 1800019B
	v_mul_f32_e32 v34, s47, v34                                // 00000000AA20: 0A44442F
	v_mul_f32_e32 v35, s47, v35                                // 00000000AA24: 0A46462F
	v_cvt_pk_f16_f32 v149, v34, v35                            // 00000000AA28: D2670095 00024722
	v_accvgpr_read_b32 v34, a156                               // 00000000AA30: D3D84022 1800019C
	v_accvgpr_read_b32 v35, a157                               // 00000000AA38: D3D84023 1800019D
	v_mul_f32_e32 v34, s47, v34                                // 00000000AA40: 0A44442F
	v_mul_f32_e32 v35, s47, v35                                // 00000000AA44: 0A46462F
	v_cvt_pk_f16_f32 v150, v34, v35                            // 00000000AA48: D2670096 00024722
	v_accvgpr_read_b32 v34, a158                               // 00000000AA50: D3D84022 1800019E
	v_accvgpr_read_b32 v35, a159                               // 00000000AA58: D3D84023 1800019F
	v_mul_f32_e32 v34, s47, v34                                // 00000000AA60: 0A44442F
	v_mul_f32_e32 v35, s47, v35                                // 00000000AA64: 0A46462F
	v_cvt_pk_f16_f32 v151, v34, v35                            // 00000000AA68: D2670097 00024722
	v_accvgpr_read_b32 v34, a160                               // 00000000AA70: D3D84022 180001A0
	v_accvgpr_read_b32 v35, a161                               // 00000000AA78: D3D84023 180001A1
	v_mul_f32_e32 v34, s47, v34                                // 00000000AA80: 0A44442F
	v_mul_f32_e32 v35, s47, v35                                // 00000000AA84: 0A46462F
	v_cvt_pk_f16_f32 v152, v34, v35                            // 00000000AA88: D2670098 00024722
	v_accvgpr_read_b32 v34, a162                               // 00000000AA90: D3D84022 180001A2
	v_accvgpr_read_b32 v35, a163                               // 00000000AA98: D3D84023 180001A3
	v_mul_f32_e32 v34, s47, v34                                // 00000000AAA0: 0A44442F
	v_mul_f32_e32 v35, s47, v35                                // 00000000AAA4: 0A46462F
	v_cvt_pk_f16_f32 v153, v34, v35                            // 00000000AAA8: D2670099 00024722
	v_accvgpr_read_b32 v34, a164                               // 00000000AAB0: D3D84022 180001A4
	v_accvgpr_read_b32 v35, a165                               // 00000000AAB8: D3D84023 180001A5
	v_mul_f32_e32 v34, s47, v34                                // 00000000AAC0: 0A44442F
	v_mul_f32_e32 v35, s47, v35                                // 00000000AAC4: 0A46462F
	v_cvt_pk_f16_f32 v154, v34, v35                            // 00000000AAC8: D267009A 00024722
	v_accvgpr_read_b32 v34, a166                               // 00000000AAD0: D3D84022 180001A6
	v_accvgpr_read_b32 v35, a167                               // 00000000AAD8: D3D84023 180001A7
	v_mul_f32_e32 v34, s47, v34                                // 00000000AAE0: 0A44442F
	v_mul_f32_e32 v35, s47, v35                                // 00000000AAE4: 0A46462F
	v_cvt_pk_f16_f32 v155, v34, v35                            // 00000000AAE8: D267009B 00024722
	v_accvgpr_read_b32 v34, a168                               // 00000000AAF0: D3D84022 180001A8
	v_accvgpr_read_b32 v35, a169                               // 00000000AAF8: D3D84023 180001A9
	v_mul_f32_e32 v34, s47, v34                                // 00000000AB00: 0A44442F
	v_mul_f32_e32 v35, s47, v35                                // 00000000AB04: 0A46462F
	v_cvt_pk_f16_f32 v156, v34, v35                            // 00000000AB08: D267009C 00024722
	v_accvgpr_read_b32 v34, a170                               // 00000000AB10: D3D84022 180001AA
	v_accvgpr_read_b32 v35, a171                               // 00000000AB18: D3D84023 180001AB
	v_mul_f32_e32 v34, s47, v34                                // 00000000AB20: 0A44442F
	v_mul_f32_e32 v35, s47, v35                                // 00000000AB24: 0A46462F
	v_cvt_pk_f16_f32 v157, v34, v35                            // 00000000AB28: D267009D 00024722
	v_accvgpr_read_b32 v34, a172                               // 00000000AB30: D3D84022 180001AC
	v_accvgpr_read_b32 v35, a173                               // 00000000AB38: D3D84023 180001AD
	v_mul_f32_e32 v34, s47, v34                                // 00000000AB40: 0A44442F
	v_mul_f32_e32 v35, s47, v35                                // 00000000AB44: 0A46462F
	v_cvt_pk_f16_f32 v158, v34, v35                            // 00000000AB48: D267009E 00024722
	v_accvgpr_read_b32 v34, a174                               // 00000000AB50: D3D84022 180001AE
	v_accvgpr_read_b32 v35, a175                               // 00000000AB58: D3D84023 180001AF
	v_mul_f32_e32 v34, s47, v34                                // 00000000AB60: 0A44442F
	v_mul_f32_e32 v35, s47, v35                                // 00000000AB64: 0A46462F
	v_cvt_pk_f16_f32 v159, v34, v35                            // 00000000AB68: D267009F 00024722
	v_accvgpr_read_b32 v34, a176                               // 00000000AB70: D3D84022 180001B0
	v_accvgpr_read_b32 v35, a177                               // 00000000AB78: D3D84023 180001B1
	v_mul_f32_e32 v34, s47, v34                                // 00000000AB80: 0A44442F
	v_mul_f32_e32 v35, s47, v35                                // 00000000AB84: 0A46462F
	v_cvt_pk_f16_f32 v160, v34, v35                            // 00000000AB88: D26700A0 00024722
	v_accvgpr_read_b32 v34, a178                               // 00000000AB90: D3D84022 180001B2
	v_accvgpr_read_b32 v35, a179                               // 00000000AB98: D3D84023 180001B3
	v_mul_f32_e32 v34, s47, v34                                // 00000000ABA0: 0A44442F
	v_mul_f32_e32 v35, s47, v35                                // 00000000ABA4: 0A46462F
	v_cvt_pk_f16_f32 v161, v34, v35                            // 00000000ABA8: D26700A1 00024722
	v_accvgpr_read_b32 v34, a180                               // 00000000ABB0: D3D84022 180001B4
	v_accvgpr_read_b32 v35, a181                               // 00000000ABB8: D3D84023 180001B5
	v_mul_f32_e32 v34, s47, v34                                // 00000000ABC0: 0A44442F
	v_mul_f32_e32 v35, s47, v35                                // 00000000ABC4: 0A46462F
	v_cvt_pk_f16_f32 v162, v34, v35                            // 00000000ABC8: D26700A2 00024722
	v_accvgpr_read_b32 v34, a182                               // 00000000ABD0: D3D84022 180001B6
	v_accvgpr_read_b32 v35, a183                               // 00000000ABD8: D3D84023 180001B7
	v_mul_f32_e32 v34, s47, v34                                // 00000000ABE0: 0A44442F
	v_mul_f32_e32 v35, s47, v35                                // 00000000ABE4: 0A46462F
	v_cvt_pk_f16_f32 v163, v34, v35                            // 00000000ABE8: D26700A3 00024722
	v_accvgpr_read_b32 v34, a184                               // 00000000ABF0: D3D84022 180001B8
	v_accvgpr_read_b32 v35, a185                               // 00000000ABF8: D3D84023 180001B9
	v_mul_f32_e32 v34, s47, v34                                // 00000000AC00: 0A44442F
	v_mul_f32_e32 v35, s47, v35                                // 00000000AC04: 0A46462F
	v_cvt_pk_f16_f32 v164, v34, v35                            // 00000000AC08: D26700A4 00024722
	v_accvgpr_read_b32 v34, a186                               // 00000000AC10: D3D84022 180001BA
	v_accvgpr_read_b32 v35, a187                               // 00000000AC18: D3D84023 180001BB
	v_mul_f32_e32 v34, s47, v34                                // 00000000AC20: 0A44442F
	v_mul_f32_e32 v35, s47, v35                                // 00000000AC24: 0A46462F
	v_cvt_pk_f16_f32 v165, v34, v35                            // 00000000AC28: D26700A5 00024722
	v_accvgpr_read_b32 v34, a188                               // 00000000AC30: D3D84022 180001BC
	v_accvgpr_read_b32 v35, a189                               // 00000000AC38: D3D84023 180001BD
	v_mul_f32_e32 v34, s47, v34                                // 00000000AC40: 0A44442F
	v_mul_f32_e32 v35, s47, v35                                // 00000000AC44: 0A46462F
	v_cvt_pk_f16_f32 v166, v34, v35                            // 00000000AC48: D26700A6 00024722
	v_accvgpr_read_b32 v34, a190                               // 00000000AC50: D3D84022 180001BE
	v_accvgpr_read_b32 v35, a191                               // 00000000AC58: D3D84023 180001BF
	v_mul_f32_e32 v34, s47, v34                                // 00000000AC60: 0A44442F
	v_mul_f32_e32 v35, s47, v35                                // 00000000AC64: 0A46462F
	v_cvt_pk_f16_f32 v167, v34, v35                            // 00000000AC68: D26700A7 00024722
	v_accvgpr_read_b32 v34, a192                               // 00000000AC70: D3D84022 180001C0
	v_accvgpr_read_b32 v35, a193                               // 00000000AC78: D3D84023 180001C1
	v_mul_f32_e32 v34, s47, v34                                // 00000000AC80: 0A44442F
	v_mul_f32_e32 v35, s47, v35                                // 00000000AC84: 0A46462F
	v_cvt_pk_f16_f32 v168, v34, v35                            // 00000000AC88: D26700A8 00024722
	v_accvgpr_read_b32 v34, a194                               // 00000000AC90: D3D84022 180001C2
	v_accvgpr_read_b32 v35, a195                               // 00000000AC98: D3D84023 180001C3
	v_mul_f32_e32 v34, s47, v34                                // 00000000ACA0: 0A44442F
	v_mul_f32_e32 v35, s47, v35                                // 00000000ACA4: 0A46462F
	v_cvt_pk_f16_f32 v169, v34, v35                            // 00000000ACA8: D26700A9 00024722
	v_accvgpr_read_b32 v34, a196                               // 00000000ACB0: D3D84022 180001C4
	v_accvgpr_read_b32 v35, a197                               // 00000000ACB8: D3D84023 180001C5
	v_mul_f32_e32 v34, s47, v34                                // 00000000ACC0: 0A44442F
	v_mul_f32_e32 v35, s47, v35                                // 00000000ACC4: 0A46462F
	v_cvt_pk_f16_f32 v170, v34, v35                            // 00000000ACC8: D26700AA 00024722
	v_accvgpr_read_b32 v34, a198                               // 00000000ACD0: D3D84022 180001C6
	v_accvgpr_read_b32 v35, a199                               // 00000000ACD8: D3D84023 180001C7
	v_mul_f32_e32 v34, s47, v34                                // 00000000ACE0: 0A44442F
	v_mul_f32_e32 v35, s47, v35                                // 00000000ACE4: 0A46462F
	v_cvt_pk_f16_f32 v171, v34, v35                            // 00000000ACE8: D26700AB 00024722
	v_accvgpr_read_b32 v34, a200                               // 00000000ACF0: D3D84022 180001C8
	v_accvgpr_read_b32 v35, a201                               // 00000000ACF8: D3D84023 180001C9
	v_mul_f32_e32 v34, s47, v34                                // 00000000AD00: 0A44442F
	v_mul_f32_e32 v35, s47, v35                                // 00000000AD04: 0A46462F
	v_cvt_pk_f16_f32 v172, v34, v35                            // 00000000AD08: D26700AC 00024722
	v_accvgpr_read_b32 v34, a202                               // 00000000AD10: D3D84022 180001CA
	v_accvgpr_read_b32 v35, a203                               // 00000000AD18: D3D84023 180001CB
	v_mul_f32_e32 v34, s47, v34                                // 00000000AD20: 0A44442F
	v_mul_f32_e32 v35, s47, v35                                // 00000000AD24: 0A46462F
	v_cvt_pk_f16_f32 v173, v34, v35                            // 00000000AD28: D26700AD 00024722
	v_accvgpr_read_b32 v34, a204                               // 00000000AD30: D3D84022 180001CC
	v_accvgpr_read_b32 v35, a205                               // 00000000AD38: D3D84023 180001CD
	v_mul_f32_e32 v34, s47, v34                                // 00000000AD40: 0A44442F
	v_mul_f32_e32 v35, s47, v35                                // 00000000AD44: 0A46462F
	v_cvt_pk_f16_f32 v174, v34, v35                            // 00000000AD48: D26700AE 00024722
	v_accvgpr_read_b32 v34, a206                               // 00000000AD50: D3D84022 180001CE
	v_accvgpr_read_b32 v35, a207                               // 00000000AD58: D3D84023 180001CF
	v_mul_f32_e32 v34, s47, v34                                // 00000000AD60: 0A44442F
	v_mul_f32_e32 v35, s47, v35                                // 00000000AD64: 0A46462F
	v_cvt_pk_f16_f32 v175, v34, v35                            // 00000000AD68: D26700AF 00024722
	ds_write_b64 v24, v[128:129]                               // 00000000AD70: D89A0000 00008018
	ds_write_b64 v24, v[130:131] offset:544                    // 00000000AD78: D89A0220 00008218
	ds_write_b64 v24, v[132:133] offset:1088                   // 00000000AD80: D89A0440 00008418
	ds_write_b64 v24, v[134:135] offset:1632                   // 00000000AD88: D89A0660 00008618
	ds_write_b64 v24, v[136:137] offset:2176                   // 00000000AD90: D89A0880 00008818
	ds_write_b64 v24, v[138:139] offset:2720                   // 00000000AD98: D89A0AA0 00008A18
	ds_write_b64 v24, v[140:141] offset:3264                   // 00000000ADA0: D89A0CC0 00008C18
	ds_write_b64 v24, v[142:143] offset:3808                   // 00000000ADA8: D89A0EE0 00008E18
	ds_write_b64 v24, v[144:145] offset:4352                   // 00000000ADB0: D89A1100 00009018
	ds_write_b64 v24, v[146:147] offset:4896                   // 00000000ADB8: D89A1320 00009218
	ds_write_b64 v24, v[148:149] offset:5440                   // 00000000ADC0: D89A1540 00009418
	ds_write_b64 v24, v[150:151] offset:5984                   // 00000000ADC8: D89A1760 00009618
	ds_write_b64 v24, v[152:153] offset:6528                   // 00000000ADD0: D89A1980 00009818
	ds_write_b64 v24, v[154:155] offset:7072                   // 00000000ADD8: D89A1BA0 00009A18
	ds_write_b64 v24, v[156:157] offset:7616                   // 00000000ADE0: D89A1DC0 00009C18
	ds_write_b64 v24, v[158:159] offset:8160                   // 00000000ADE8: D89A1FE0 00009E18
	ds_write_b64 v24, v[160:161] offset:8704                   // 00000000ADF0: D89A2200 0000A018
	ds_write_b64 v24, v[162:163] offset:9248                   // 00000000ADF8: D89A2420 0000A218
	ds_write_b64 v24, v[164:165] offset:9792                   // 00000000AE00: D89A2640 0000A418
	ds_write_b64 v24, v[166:167] offset:10336                  // 00000000AE08: D89A2860 0000A618
	ds_write_b64 v24, v[168:169] offset:10880                  // 00000000AE10: D89A2A80 0000A818
	ds_write_b64 v24, v[170:171] offset:11424                  // 00000000AE18: D89A2CA0 0000AA18
	ds_write_b64 v24, v[172:173] offset:11968                  // 00000000AE20: D89A2EC0 0000AC18
	ds_write_b64 v24, v[174:175] offset:12512                  // 00000000AE28: D89A30E0 0000AE18
	s_waitcnt lgkmcnt(0)                                       // 00000000AE30: BF8CC07F
	s_barrier                                                  // 00000000AE34: BF8A0000
	ds_read_b64 v[128:129], v22                                // 00000000AE38: D8EC0000 80000016
	ds_read_b64 v[130:131], v22 offset:256                     // 00000000AE40: D8EC0100 82000016
	ds_read_b64 v[132:133], v22 offset:4352                    // 00000000AE48: D8EC1100 84000016
	ds_read_b64 v[134:135], v22 offset:4608                    // 00000000AE50: D8EC1200 86000016
	ds_read_b64 v[136:137], v22 offset:8704                    // 00000000AE58: D8EC2200 88000016
	ds_read_b64 v[138:139], v22 offset:8960                    // 00000000AE60: D8EC2300 8A000016
	ds_read_b64 v[140:141], v22 offset:64                      // 00000000AE68: D8EC0040 8C000016
	ds_read_b64 v[142:143], v22 offset:320                     // 00000000AE70: D8EC0140 8E000016
	ds_read_b64 v[144:145], v22 offset:4416                    // 00000000AE78: D8EC1140 90000016
	ds_read_b64 v[146:147], v22 offset:4672                    // 00000000AE80: D8EC1240 92000016
	ds_read_b64 v[148:149], v22 offset:8768                    // 00000000AE88: D8EC2240 94000016
	ds_read_b64 v[150:151], v22 offset:9024                    // 00000000AE90: D8EC2340 96000016
	ds_read_b64 v[152:153], v22 offset:128                     // 00000000AE98: D8EC0080 98000016
	ds_read_b64 v[154:155], v22 offset:384                     // 00000000AEA0: D8EC0180 9A000016
	ds_read_b64 v[156:157], v22 offset:4480                    // 00000000AEA8: D8EC1180 9C000016
	ds_read_b64 v[158:159], v22 offset:4736                    // 00000000AEB0: D8EC1280 9E000016
	ds_read_b64 v[160:161], v22 offset:8832                    // 00000000AEB8: D8EC2280 A0000016
	ds_read_b64 v[162:163], v22 offset:9088                    // 00000000AEC0: D8EC2380 A2000016
	ds_read_b64 v[164:165], v22 offset:192                     // 00000000AEC8: D8EC00C0 A4000016
	ds_read_b64 v[166:167], v22 offset:448                     // 00000000AED0: D8EC01C0 A6000016
	ds_read_b64 v[168:169], v22 offset:4544                    // 00000000AED8: D8EC11C0 A8000016
	ds_read_b64 v[170:171], v22 offset:4800                    // 00000000AEE0: D8EC12C0 AA000016
	ds_read_b64 v[172:173], v22 offset:8896                    // 00000000AEE8: D8EC22C0 AC000016
	ds_read_b64 v[174:175], v22 offset:9152                    // 00000000AEF0: D8EC23C0 AE000016
	s_waitcnt lgkmcnt(0)                                       // 00000000AEF8: BF8CC07F
	s_mov_b32 s70, s52                                         // 00000000AEFC: BEC60034
	buffer_store_dwordx4 v[128:131], v5, s[36:39], 0 offen     // 00000000AF00: E07C1000 80098005
	buffer_store_dwordx4 v[132:135], v5, s[36:39], 0 offen offset:128// 00000000AF08: E07C1080 80098405
	buffer_store_dwordx4 v[136:139], v5, s[36:39], 0 offen offset:256// 00000000AF10: E07C1100 80098805
	s_mul_i32 s60, 8, s70                                      // 00000000AF18: 923C4688
	v_add_u32_e32 v5, s60, v5                                  // 00000000AF1C: 680A0A3C
	buffer_store_dwordx4 v[140:143], v5, s[36:39], 0 offen     // 00000000AF20: E07C1000 80098C05
	buffer_store_dwordx4 v[144:147], v5, s[36:39], 0 offen offset:128// 00000000AF28: E07C1080 80099005
	buffer_store_dwordx4 v[148:151], v5, s[36:39], 0 offen offset:256// 00000000AF30: E07C1100 80099405
	s_mul_i32 s60, 8, s70                                      // 00000000AF38: 923C4688
	v_add_u32_e32 v5, s60, v5                                  // 00000000AF3C: 680A0A3C
	s_mul_i32 s60, 48, s70                                     // 00000000AF40: 923C46B0
	v_add_u32_e32 v5, s60, v5                                  // 00000000AF44: 680A0A3C
	buffer_store_dwordx4 v[152:155], v5, s[36:39], 0 offen     // 00000000AF48: E07C1000 80099805
	buffer_store_dwordx4 v[156:159], v5, s[36:39], 0 offen offset:128// 00000000AF50: E07C1080 80099C05
	buffer_store_dwordx4 v[160:163], v5, s[36:39], 0 offen offset:256// 00000000AF58: E07C1100 8009A005
	s_mul_i32 s60, 8, s70                                      // 00000000AF60: 923C4688
	v_add_u32_e32 v5, s60, v5                                  // 00000000AF64: 680A0A3C
	buffer_store_dwordx4 v[164:167], v5, s[36:39], 0 offen     // 00000000AF68: E07C1000 8009A405
	buffer_store_dwordx4 v[168:171], v5, s[36:39], 0 offen offset:128// 00000000AF70: E07C1080 8009A805
	buffer_store_dwordx4 v[172:175], v5, s[36:39], 0 offen offset:256// 00000000AF78: E07C1100 8009AC05
	s_mul_i32 s60, 8, s70                                      // 00000000AF80: 923C4688
	v_add_u32_e32 v5, s60, v5                                  // 00000000AF84: 680A0A3C
	s_mul_i32 s60, 48, s70                                     // 00000000AF88: 923C46B0
	v_add_u32_e32 v5, s60, v5                                  // 00000000AF8C: 680A0A3C
	s_cmp_ge_i32 2, s72                                        // 00000000AF90: BF034882
	s_cbranch_scc1 label_1D08                                  // 00000000AF94: BF850104
	v_accvgpr_read_b32 v34, a208                               // 00000000AF98: D3D84022 180001D0
	v_accvgpr_read_b32 v35, a209                               // 00000000AFA0: D3D84023 180001D1
	v_mul_f32_e32 v34, s47, v34                                // 00000000AFA8: 0A44442F
	v_mul_f32_e32 v35, s47, v35                                // 00000000AFAC: 0A46462F
	v_cvt_pk_f16_f32 v176, v34, v35                            // 00000000AFB0: D26700B0 00024722
	v_accvgpr_read_b32 v34, a210                               // 00000000AFB8: D3D84022 180001D2
	v_accvgpr_read_b32 v35, a211                               // 00000000AFC0: D3D84023 180001D3
	v_mul_f32_e32 v34, s47, v34                                // 00000000AFC8: 0A44442F
	v_mul_f32_e32 v35, s47, v35                                // 00000000AFCC: 0A46462F
	v_cvt_pk_f16_f32 v177, v34, v35                            // 00000000AFD0: D26700B1 00024722
	v_accvgpr_read_b32 v34, a212                               // 00000000AFD8: D3D84022 180001D4
	v_accvgpr_read_b32 v35, a213                               // 00000000AFE0: D3D84023 180001D5
	v_mul_f32_e32 v34, s47, v34                                // 00000000AFE8: 0A44442F
	v_mul_f32_e32 v35, s47, v35                                // 00000000AFEC: 0A46462F
	v_cvt_pk_f16_f32 v178, v34, v35                            // 00000000AFF0: D26700B2 00024722
	v_accvgpr_read_b32 v34, a214                               // 00000000AFF8: D3D84022 180001D6
	v_accvgpr_read_b32 v35, a215                               // 00000000B000: D3D84023 180001D7
	v_mul_f32_e32 v34, s47, v34                                // 00000000B008: 0A44442F
	v_mul_f32_e32 v35, s47, v35                                // 00000000B00C: 0A46462F
	v_cvt_pk_f16_f32 v179, v34, v35                            // 00000000B010: D26700B3 00024722
	v_accvgpr_read_b32 v34, a216                               // 00000000B018: D3D84022 180001D8
	v_accvgpr_read_b32 v35, a217                               // 00000000B020: D3D84023 180001D9
	v_mul_f32_e32 v34, s47, v34                                // 00000000B028: 0A44442F
	v_mul_f32_e32 v35, s47, v35                                // 00000000B02C: 0A46462F
	v_cvt_pk_f16_f32 v180, v34, v35                            // 00000000B030: D26700B4 00024722
	v_accvgpr_read_b32 v34, a218                               // 00000000B038: D3D84022 180001DA
	v_accvgpr_read_b32 v35, a219                               // 00000000B040: D3D84023 180001DB
	v_mul_f32_e32 v34, s47, v34                                // 00000000B048: 0A44442F
	v_mul_f32_e32 v35, s47, v35                                // 00000000B04C: 0A46462F
	v_cvt_pk_f16_f32 v181, v34, v35                            // 00000000B050: D26700B5 00024722
	v_accvgpr_read_b32 v34, a220                               // 00000000B058: D3D84022 180001DC
	v_accvgpr_read_b32 v35, a221                               // 00000000B060: D3D84023 180001DD
	v_mul_f32_e32 v34, s47, v34                                // 00000000B068: 0A44442F
	v_mul_f32_e32 v35, s47, v35                                // 00000000B06C: 0A46462F
	v_cvt_pk_f16_f32 v182, v34, v35                            // 00000000B070: D26700B6 00024722
	v_accvgpr_read_b32 v34, a222                               // 00000000B078: D3D84022 180001DE
	v_accvgpr_read_b32 v35, a223                               // 00000000B080: D3D84023 180001DF
	v_mul_f32_e32 v34, s47, v34                                // 00000000B088: 0A44442F
	v_mul_f32_e32 v35, s47, v35                                // 00000000B08C: 0A46462F
	v_cvt_pk_f16_f32 v183, v34, v35                            // 00000000B090: D26700B7 00024722
	v_accvgpr_read_b32 v34, a224                               // 00000000B098: D3D84022 180001E0
	v_accvgpr_read_b32 v35, a225                               // 00000000B0A0: D3D84023 180001E1
	v_mul_f32_e32 v34, s47, v34                                // 00000000B0A8: 0A44442F
	v_mul_f32_e32 v35, s47, v35                                // 00000000B0AC: 0A46462F
	v_cvt_pk_f16_f32 v184, v34, v35                            // 00000000B0B0: D26700B8 00024722
	v_accvgpr_read_b32 v34, a226                               // 00000000B0B8: D3D84022 180001E2
	v_accvgpr_read_b32 v35, a227                               // 00000000B0C0: D3D84023 180001E3
	v_mul_f32_e32 v34, s47, v34                                // 00000000B0C8: 0A44442F
	v_mul_f32_e32 v35, s47, v35                                // 00000000B0CC: 0A46462F
	v_cvt_pk_f16_f32 v185, v34, v35                            // 00000000B0D0: D26700B9 00024722
	v_accvgpr_read_b32 v34, a228                               // 00000000B0D8: D3D84022 180001E4
	v_accvgpr_read_b32 v35, a229                               // 00000000B0E0: D3D84023 180001E5
	v_mul_f32_e32 v34, s47, v34                                // 00000000B0E8: 0A44442F
	v_mul_f32_e32 v35, s47, v35                                // 00000000B0EC: 0A46462F
	v_cvt_pk_f16_f32 v186, v34, v35                            // 00000000B0F0: D26700BA 00024722
	v_accvgpr_read_b32 v34, a230                               // 00000000B0F8: D3D84022 180001E6
	v_accvgpr_read_b32 v35, a231                               // 00000000B100: D3D84023 180001E7
	v_mul_f32_e32 v34, s47, v34                                // 00000000B108: 0A44442F
	v_mul_f32_e32 v35, s47, v35                                // 00000000B10C: 0A46462F
	v_cvt_pk_f16_f32 v187, v34, v35                            // 00000000B110: D26700BB 00024722
	v_accvgpr_read_b32 v34, a232                               // 00000000B118: D3D84022 180001E8
	v_accvgpr_read_b32 v35, a233                               // 00000000B120: D3D84023 180001E9
	v_mul_f32_e32 v34, s47, v34                                // 00000000B128: 0A44442F
	v_mul_f32_e32 v35, s47, v35                                // 00000000B12C: 0A46462F
	v_cvt_pk_f16_f32 v188, v34, v35                            // 00000000B130: D26700BC 00024722
	v_accvgpr_read_b32 v34, a234                               // 00000000B138: D3D84022 180001EA
	v_accvgpr_read_b32 v35, a235                               // 00000000B140: D3D84023 180001EB
	v_mul_f32_e32 v34, s47, v34                                // 00000000B148: 0A44442F
	v_mul_f32_e32 v35, s47, v35                                // 00000000B14C: 0A46462F
	v_cvt_pk_f16_f32 v189, v34, v35                            // 00000000B150: D26700BD 00024722
	v_accvgpr_read_b32 v34, a236                               // 00000000B158: D3D84022 180001EC
	v_accvgpr_read_b32 v35, a237                               // 00000000B160: D3D84023 180001ED
	v_mul_f32_e32 v34, s47, v34                                // 00000000B168: 0A44442F
	v_mul_f32_e32 v35, s47, v35                                // 00000000B16C: 0A46462F
	v_cvt_pk_f16_f32 v190, v34, v35                            // 00000000B170: D26700BE 00024722
	v_accvgpr_read_b32 v34, a238                               // 00000000B178: D3D84022 180001EE
	v_accvgpr_read_b32 v35, a239                               // 00000000B180: D3D84023 180001EF
	v_mul_f32_e32 v34, s47, v34                                // 00000000B188: 0A44442F
	v_mul_f32_e32 v35, s47, v35                                // 00000000B18C: 0A46462F
	v_cvt_pk_f16_f32 v191, v34, v35                            // 00000000B190: D26700BF 00024722
	v_accvgpr_read_b32 v34, a240                               // 00000000B198: D3D84022 180001F0
	v_accvgpr_read_b32 v35, a241                               // 00000000B1A0: D3D84023 180001F1
	v_mul_f32_e32 v34, s47, v34                                // 00000000B1A8: 0A44442F
	v_mul_f32_e32 v35, s47, v35                                // 00000000B1AC: 0A46462F
	v_cvt_pk_f16_f32 v192, v34, v35                            // 00000000B1B0: D26700C0 00024722
	v_accvgpr_read_b32 v34, a242                               // 00000000B1B8: D3D84022 180001F2
	v_accvgpr_read_b32 v35, a243                               // 00000000B1C0: D3D84023 180001F3
	v_mul_f32_e32 v34, s47, v34                                // 00000000B1C8: 0A44442F
	v_mul_f32_e32 v35, s47, v35                                // 00000000B1CC: 0A46462F
	v_cvt_pk_f16_f32 v193, v34, v35                            // 00000000B1D0: D26700C1 00024722
	v_accvgpr_read_b32 v34, a244                               // 00000000B1D8: D3D84022 180001F4
	v_accvgpr_read_b32 v35, a245                               // 00000000B1E0: D3D84023 180001F5
	v_mul_f32_e32 v34, s47, v34                                // 00000000B1E8: 0A44442F
	v_mul_f32_e32 v35, s47, v35                                // 00000000B1EC: 0A46462F
	v_cvt_pk_f16_f32 v194, v34, v35                            // 00000000B1F0: D26700C2 00024722
	v_accvgpr_read_b32 v34, a246                               // 00000000B1F8: D3D84022 180001F6
	v_accvgpr_read_b32 v35, a247                               // 00000000B200: D3D84023 180001F7
	v_mul_f32_e32 v34, s47, v34                                // 00000000B208: 0A44442F
	v_mul_f32_e32 v35, s47, v35                                // 00000000B20C: 0A46462F
	v_cvt_pk_f16_f32 v195, v34, v35                            // 00000000B210: D26700C3 00024722
	v_accvgpr_read_b32 v34, a248                               // 00000000B218: D3D84022 180001F8
	v_accvgpr_read_b32 v35, a249                               // 00000000B220: D3D84023 180001F9
	v_mul_f32_e32 v34, s47, v34                                // 00000000B228: 0A44442F
	v_mul_f32_e32 v35, s47, v35                                // 00000000B22C: 0A46462F
	v_cvt_pk_f16_f32 v196, v34, v35                            // 00000000B230: D26700C4 00024722
	v_accvgpr_read_b32 v34, a250                               // 00000000B238: D3D84022 180001FA
	v_accvgpr_read_b32 v35, a251                               // 00000000B240: D3D84023 180001FB
	v_mul_f32_e32 v34, s47, v34                                // 00000000B248: 0A44442F
	v_mul_f32_e32 v35, s47, v35                                // 00000000B24C: 0A46462F
	v_cvt_pk_f16_f32 v197, v34, v35                            // 00000000B250: D26700C5 00024722
	v_accvgpr_read_b32 v34, a252                               // 00000000B258: D3D84022 180001FC
	v_accvgpr_read_b32 v35, a253                               // 00000000B260: D3D84023 180001FD
	v_mul_f32_e32 v34, s47, v34                                // 00000000B268: 0A44442F
	v_mul_f32_e32 v35, s47, v35                                // 00000000B26C: 0A46462F
	v_cvt_pk_f16_f32 v198, v34, v35                            // 00000000B270: D26700C6 00024722
	v_accvgpr_read_b32 v34, a254                               // 00000000B278: D3D84022 180001FE
	v_accvgpr_read_b32 v35, a255                               // 00000000B280: D3D84023 180001FF
	v_mul_f32_e32 v34, s47, v34                                // 00000000B288: 0A44442F
	v_mul_f32_e32 v35, s47, v35                                // 00000000B28C: 0A46462F
	v_cvt_pk_f16_f32 v199, v34, v35                            // 00000000B290: D26700C7 00024722
	ds_write_b64 v25, v[176:177] offset:52224                  // 00000000B298: D89ACC00 0000B019
	ds_write_b64 v25, v[178:179] offset:52800                  // 00000000B2A0: D89ACE40 0000B219
	ds_write_b64 v25, v[180:181] offset:53376                  // 00000000B2A8: D89AD080 0000B419
	ds_write_b64 v25, v[182:183] offset:53952                  // 00000000B2B0: D89AD2C0 0000B619
	ds_write_b64 v25, v[184:185] offset:54528                  // 00000000B2B8: D89AD500 0000B819
	ds_write_b64 v25, v[186:187] offset:55104                  // 00000000B2C0: D89AD740 0000BA19
	ds_write_b64 v25, v[188:189] offset:55680                  // 00000000B2C8: D89AD980 0000BC19
	ds_write_b64 v25, v[190:191] offset:56256                  // 00000000B2D0: D89ADBC0 0000BE19
	ds_write_b64 v25, v[192:193] offset:56832                  // 00000000B2D8: D89ADE00 0000C019
	ds_write_b64 v25, v[194:195] offset:57408                  // 00000000B2E0: D89AE040 0000C219
	ds_write_b64 v25, v[196:197] offset:57984                  // 00000000B2E8: D89AE280 0000C419
	ds_write_b64 v25, v[198:199] offset:58560                  // 00000000B2F0: D89AE4C0 0000C619
	s_waitcnt lgkmcnt(0)                                       // 00000000B2F8: BF8CC07F
	s_barrier                                                  // 00000000B2FC: BF8A0000
	ds_read_b64 v[176:177], v23 offset:52224                   // 00000000B300: D8ECCC00 B0000017
	ds_read_b64 v[178:179], v23 offset:52352                   // 00000000B308: D8ECCC80 B2000017
	ds_read_b64 v[180:181], v23 offset:54528                   // 00000000B310: D8ECD500 B4000017
	ds_read_b64 v[182:183], v23 offset:54656                   // 00000000B318: D8ECD580 B6000017
	ds_read_b64 v[184:185], v23 offset:56832                   // 00000000B320: D8ECDE00 B8000017
	ds_read_b64 v[186:187], v23 offset:56960                   // 00000000B328: D8ECDE80 BA000017
	ds_read_b64 v[188:189], v23 offset:52288                   // 00000000B330: D8ECCC40 BC000017
	ds_read_b64 v[190:191], v23 offset:52416                   // 00000000B338: D8ECCCC0 BE000017
	ds_read_b64 v[192:193], v23 offset:54592                   // 00000000B340: D8ECD540 C0000017
	ds_read_b64 v[194:195], v23 offset:54720                   // 00000000B348: D8ECD5C0 C2000017
	ds_read_b64 v[196:197], v23 offset:56896                   // 00000000B350: D8ECDE40 C4000017
	ds_read_b64 v[198:199], v23 offset:57024                   // 00000000B358: D8ECDEC0 C6000017
	s_waitcnt lgkmcnt(0)                                       // 00000000B360: BF8CC07F
	s_mov_b32 s70, s52                                         // 00000000B364: BEC60034
	buffer_store_dwordx4 v[176:179], v5, s[36:39], 0 offen     // 00000000B368: E07C1000 8009B005
	buffer_store_dwordx4 v[180:183], v5, s[36:39], 0 offen offset:128// 00000000B370: E07C1080 8009B405
	buffer_store_dwordx4 v[184:187], v5, s[36:39], 0 offen offset:256// 00000000B378: E07C1100 8009B805
	s_mul_i32 s60, 8, s70                                      // 00000000B380: 923C4688
	v_add_u32_e32 v5, s60, v5                                  // 00000000B384: 680A0A3C
	buffer_store_dwordx4 v[188:191], v5, s[36:39], 0 offen     // 00000000B388: E07C1000 8009BC05
	buffer_store_dwordx4 v[192:195], v5, s[36:39], 0 offen offset:128// 00000000B390: E07C1080 8009C005
	buffer_store_dwordx4 v[196:199], v5, s[36:39], 0 offen offset:256// 00000000B398: E07C1100 8009C405
	s_mul_i32 s60, 8, s70                                      // 00000000B3A0: 923C4688
	v_add_u32_e32 v5, s60, v5                                  // 00000000B3A4: 680A0A3C

000000000000b3a8 <label_1D08>:
	s_waitcnt vmcnt(0) expcnt(0) lgkmcnt(0)                    // 00000000B3A8: BF8C0000
	s_sub_i32 s60, s77, 1                                      // 00000000B3AC: 81BC814D
	s_sub_i32 s2, s60, s2                                      // 00000000B3B0: 8182023C
	s_addk_i32 s75, 0x1                                        // 00000000B3B4: B74B0001
	s_cmp_lt_i32 s75, s76                                      // 00000000B3B8: BF044C4B
	s_cbranch_scc1 label_0160                                  // 00000000B3BC: BF85E470
	s_waitcnt vmcnt(0) expcnt(0) lgkmcnt(0)                    // 00000000B3C0: BF8C0000
	s_endpgm                                                   // 00000000B3C4: BF810000
